;; amdgpu-corpus repo=ROCm/rocFFT kind=compiled arch=gfx906 opt=O3
	.text
	.amdgcn_target "amdgcn-amd-amdhsa--gfx906"
	.amdhsa_code_object_version 6
	.protected	bluestein_single_back_len1020_dim1_dp_op_CI_CI ; -- Begin function bluestein_single_back_len1020_dim1_dp_op_CI_CI
	.globl	bluestein_single_back_len1020_dim1_dp_op_CI_CI
	.p2align	8
	.type	bluestein_single_back_len1020_dim1_dp_op_CI_CI,@function
bluestein_single_back_len1020_dim1_dp_op_CI_CI: ; @bluestein_single_back_len1020_dim1_dp_op_CI_CI
; %bb.0:
	v_mul_u32_u24_e32 v1, 0x3c4, v0
	s_mov_b64 s[70:71], s[2:3]
	s_load_dwordx4 s[12:15], s[4:5], 0x28
	v_lshrrev_b32_e32 v1, 16, v1
	s_mov_b64 s[68:69], s[0:1]
	v_mad_u64_u32 v[7:8], s[0:1], s6, 3, v[1:2]
	v_mov_b32_e32 v8, 0
	s_add_u32 s68, s68, s7
	s_waitcnt lgkmcnt(0)
	v_cmp_gt_u64_e32 vcc, s[12:13], v[7:8]
	s_addc_u32 s69, s69, 0
	s_and_saveexec_b64 s[0:1], vcc
	s_cbranch_execz .LBB0_31
; %bb.1:
	s_load_dwordx4 s[0:3], s[4:5], 0x18
	s_load_dwordx2 s[16:17], s[4:5], 0x0
	v_mul_lo_u16_e32 v1, 0x44, v1
	v_sub_u16_e32 v170, v0, v1
	v_lshlrev_b32_e32 v48, 4, v170
	s_waitcnt lgkmcnt(0)
	s_load_dwordx4 s[8:11], s[0:1], 0x0
	v_add_co_u32_e64 v44, s[6:7], s16, v48
	v_mov_b32_e32 v75, v7
	v_mov_b32_e32 v74, v75
	s_waitcnt lgkmcnt(0)
	v_mad_u64_u32 v[0:1], s[0:1], s10, v7, 0
	v_mad_u64_u32 v[2:3], s[0:1], s8, v170, 0
	;; [unrolled: 1-line block ×4, first 2 shown]
	v_mov_b32_e32 v1, v4
	v_lshlrev_b64 v[0:1], 4, v[0:1]
	v_mov_b32_e32 v3, v5
	v_mov_b32_e32 v6, s15
	v_lshlrev_b64 v[2:3], 4, v[2:3]
	v_add_co_u32_e32 v0, vcc, s14, v0
	v_addc_co_u32_e32 v1, vcc, v6, v1, vcc
	s_mul_i32 s0, s9, 0x1fe
	s_mul_hi_u32 s1, s8, 0x1fe
	v_add_co_u32_e32 v0, vcc, v0, v2
	v_mov_b32_e32 v2, s17
	s_add_i32 s1, s1, s0
	s_mul_i32 s0, s8, 0x1fe
	v_addc_co_u32_e32 v1, vcc, v1, v3, vcc
	v_addc_co_u32_e64 v45, vcc, 0, v2, s[6:7]
	s_lshl_b64 s[14:15], s[0:1], 4
	v_mov_b32_e32 v59, s15
	v_add_co_u32_e32 v2, vcc, s14, v0
	v_addc_co_u32_e32 v3, vcc, v1, v59, vcc
	s_movk_i32 s0, 0x1000
	v_add_co_u32_e32 v57, vcc, s0, v44
	v_addc_co_u32_e32 v58, vcc, 0, v45, vcc
	global_load_dwordx4 v[4:7], v[0:1], off
	global_load_dwordx4 v[8:11], v[2:3], off
	global_load_dwordx4 v[70:73], v[57:58], off offset:4064
	global_load_dwordx4 v[126:129], v48, s[16:17]
	global_load_dwordx4 v[78:81], v48, s[16:17] offset:1088
	s_mul_hi_u32 s1, s8, 0xfffffe46
	s_mul_i32 s0, s9, 0xfffffe46
	s_sub_i32 s1, s1, s8
	s_add_i32 s1, s1, s0
	s_mul_i32 s0, s8, 0xfffffe46
	s_lshl_b64 s[18:19], s[0:1], 4
	v_mov_b32_e32 v53, s19
	v_add_co_u32_e32 v0, vcc, s18, v2
	v_addc_co_u32_e32 v1, vcc, v3, v53, vcc
	v_add_co_u32_e32 v2, vcc, s14, v0
	v_addc_co_u32_e32 v3, vcc, v1, v59, vcc
	s_movk_i32 s0, 0x2000
	global_load_dwordx4 v[12:15], v[0:1], off
	global_load_dwordx4 v[16:19], v[2:3], off
	v_add_co_u32_e32 v0, vcc, s0, v44
	v_addc_co_u32_e32 v1, vcc, 0, v45, vcc
	v_add_co_u32_e32 v2, vcc, s18, v2
	v_addc_co_u32_e32 v3, vcc, v3, v53, vcc
	global_load_dwordx4 v[20:23], v[2:3], off
	v_add_co_u32_e32 v2, vcc, s14, v2
	v_addc_co_u32_e32 v3, vcc, v3, v59, vcc
	global_load_dwordx4 v[24:27], v[2:3], off
	global_load_dwordx4 v[86:89], v[0:1], off offset:1056
	global_load_dwordx4 v[82:85], v[0:1], off offset:2144
	v_add_co_u32_e32 v2, vcc, s18, v2
	v_addc_co_u32_e32 v3, vcc, v3, v53, vcc
	global_load_dwordx4 v[28:31], v[2:3], off
	global_load_dwordx4 v[98:101], v48, s[16:17] offset:2176
	global_load_dwordx4 v[90:93], v48, s[16:17] offset:3264
	v_add_co_u32_e32 v2, vcc, s14, v2
	v_addc_co_u32_e32 v3, vcc, v3, v59, vcc
	global_load_dwordx4 v[32:35], v[2:3], off
	global_load_dwordx4 v[94:97], v[0:1], off offset:3232
	v_add_co_u32_e32 v0, vcc, s18, v2
	v_addc_co_u32_e32 v1, vcc, v3, v53, vcc
	v_add_co_u32_e32 v2, vcc, s14, v0
	v_addc_co_u32_e32 v3, vcc, v1, v59, vcc
	s_movk_i32 s0, 0x3000
	global_load_dwordx4 v[36:39], v[0:1], off
	v_add_co_u32_e32 v0, vcc, s0, v44
	v_addc_co_u32_e32 v1, vcc, 0, v45, vcc
	global_load_dwordx4 v[40:43], v[2:3], off
	v_add_co_u32_e32 v2, vcc, s18, v2
	buffer_store_dword v44, off, s[68:71], 0 offset:4 ; 4-byte Folded Spill
	buffer_store_dword v45, off, s[68:71], 0 offset:8 ; 4-byte Folded Spill
	v_addc_co_u32_e32 v3, vcc, v3, v53, vcc
	global_load_dwordx4 v[102:105], v[0:1], off offset:224
	global_load_dwordx4 v[44:47], v[2:3], off
	global_load_dwordx4 v[118:121], v[57:58], off offset:256
	global_load_dwordx4 v[110:113], v[57:58], off offset:1344
	v_add_co_u32_e32 v2, vcc, s14, v2
	v_addc_co_u32_e32 v3, vcc, v3, v59, vcc
	global_load_dwordx4 v[49:52], v[2:3], off
	global_load_dwordx4 v[106:109], v[0:1], off offset:1312
	v_add_co_u32_e32 v2, vcc, s18, v2
	v_addc_co_u32_e32 v3, vcc, v3, v53, vcc
	global_load_dwordx4 v[53:56], v[2:3], off
	global_load_dwordx4 v[114:117], v[57:58], off offset:2432
	v_add_co_u32_e32 v2, vcc, s14, v2
	v_addc_co_u32_e32 v3, vcc, v3, v59, vcc
	s_waitcnt vmcnt(24)
	v_mul_f64 v[61:62], v[6:7], v[128:129]
	v_mul_f64 v[65:66], v[10:11], v[72:73]
	s_mov_b32 s0, 0xaaaaaaab
	global_load_dwordx4 v[57:60], v[2:3], off
	global_load_dwordx4 v[122:125], v[0:1], off offset:2400
	s_load_dwordx2 s[12:13], s[4:5], 0x38
	s_load_dwordx4 s[8:11], s[2:3], 0x0
	v_mul_hi_u32 v69, v75, s0
	buffer_store_dword v74, off, s[68:71], 0 offset:124 ; 4-byte Folded Spill
	s_nop 0
	buffer_store_dword v75, off, s[68:71], 0 offset:128 ; 4-byte Folded Spill
	v_mul_f64 v[63:64], v[4:5], v[128:129]
	v_mul_f64 v[67:68], v[8:9], v[72:73]
	v_fma_f64 v[4:5], v[4:5], v[126:127], v[61:62]
	buffer_store_dword v126, off, s[68:71], 0 offset:228 ; 4-byte Folded Spill
	s_nop 0
	buffer_store_dword v127, off, s[68:71], 0 offset:232 ; 4-byte Folded Spill
	buffer_store_dword v128, off, s[68:71], 0 offset:236 ; 4-byte Folded Spill
	;; [unrolled: 1-line block ×3, first 2 shown]
	v_fma_f64 v[8:9], v[8:9], v[70:71], v[65:66]
	buffer_store_dword v70, off, s[68:71], 0 offset:12 ; 4-byte Folded Spill
	s_nop 0
	buffer_store_dword v71, off, s[68:71], 0 offset:16 ; 4-byte Folded Spill
	buffer_store_dword v72, off, s[68:71], 0 offset:20 ; 4-byte Folded Spill
	;; [unrolled: 1-line block ×3, first 2 shown]
	v_lshrrev_b32_e32 v69, 1, v69
	v_lshl_add_u32 v69, v69, 1, v69
	v_cmp_gt_u16_e64 s[0:1], 34, v170
	s_waitcnt vmcnt(34)
	v_mul_f64 v[61:62], v[14:15], v[80:81]
	s_waitcnt vmcnt(30)
	v_mul_f64 v[65:66], v[18:19], v[88:89]
	;; [unrolled: 2-line block ×3, first 2 shown]
	v_sub_u32_e32 v69, v75, v69
	v_mul_u32_u24_e32 v77, 0x3fc, v69
	v_fma_f64 v[6:7], v[6:7], v[126:127], -v[63:64]
	v_mul_f64 v[63:64], v[12:13], v[80:81]
	v_fma_f64 v[10:11], v[10:11], v[70:71], -v[67:68]
	s_waitcnt vmcnt(27)
	v_mul_f64 v[69:70], v[22:23], v[100:101]
	v_fma_f64 v[12:13], v[12:13], v[78:79], v[61:62]
	buffer_store_dword v78, off, s[68:71], 0 offset:28 ; 4-byte Folded Spill
	s_nop 0
	buffer_store_dword v79, off, s[68:71], 0 offset:32 ; 4-byte Folded Spill
	buffer_store_dword v80, off, s[68:71], 0 offset:36 ; 4-byte Folded Spill
	;; [unrolled: 1-line block ×3, first 2 shown]
	v_mul_f64 v[67:68], v[16:17], v[88:89]
	v_fma_f64 v[16:17], v[16:17], v[86:87], v[65:66]
	buffer_store_dword v86, off, s[68:71], 0 offset:60 ; 4-byte Folded Spill
	s_nop 0
	buffer_store_dword v87, off, s[68:71], 0 offset:64 ; 4-byte Folded Spill
	buffer_store_dword v88, off, s[68:71], 0 offset:68 ; 4-byte Folded Spill
	;; [unrolled: 1-line block ×3, first 2 shown]
	v_mul_f64 v[71:72], v[20:21], v[100:101]
	v_mul_f64 v[75:76], v[24:25], v[84:85]
	v_fma_f64 v[20:21], v[20:21], v[98:99], v[69:70]
	buffer_store_dword v98, off, s[68:71], 0 offset:108 ; 4-byte Folded Spill
	s_nop 0
	buffer_store_dword v99, off, s[68:71], 0 offset:112 ; 4-byte Folded Spill
	buffer_store_dword v100, off, s[68:71], 0 offset:116 ; 4-byte Folded Spill
	;; [unrolled: 1-line block ×3, first 2 shown]
	v_fma_f64 v[24:25], v[24:25], v[82:83], v[73:74]
	buffer_store_dword v82, off, s[68:71], 0 offset:44 ; 4-byte Folded Spill
	s_nop 0
	buffer_store_dword v83, off, s[68:71], 0 offset:48 ; 4-byte Folded Spill
	buffer_store_dword v84, off, s[68:71], 0 offset:52 ; 4-byte Folded Spill
	;; [unrolled: 1-line block ×3, first 2 shown]
	v_lshlrev_b32_e32 v254, 4, v77
	v_add_u32_e32 v48, v48, v254
	v_fma_f64 v[14:15], v[14:15], v[78:79], -v[63:64]
	v_fma_f64 v[18:19], v[18:19], v[86:87], -v[67:68]
	;; [unrolled: 1-line block ×4, first 2 shown]
	ds_write_b128 v48, v[4:7]
	ds_write_b128 v48, v[8:11] offset:8160
	ds_write_b128 v48, v[12:15] offset:1088
	;; [unrolled: 1-line block ×5, first 2 shown]
	s_waitcnt vmcnt(42)
	v_mul_f64 v[4:5], v[30:31], v[92:93]
	s_waitcnt vmcnt(40)
	v_mul_f64 v[8:9], v[34:35], v[96:97]
	v_mul_f64 v[6:7], v[28:29], v[92:93]
	;; [unrolled: 1-line block ×3, first 2 shown]
	s_waitcnt vmcnt(33)
	v_mul_f64 v[12:13], v[38:39], v[120:121]
	v_mul_f64 v[16:17], v[42:43], v[104:105]
	s_waitcnt vmcnt(32)
	v_mul_f64 v[20:21], v[46:47], v[112:113]
	s_waitcnt vmcnt(30)
	v_mul_f64 v[24:25], v[51:52], v[108:109]
	v_fma_f64 v[4:5], v[28:29], v[90:91], v[4:5]
	buffer_store_dword v90, off, s[68:71], 0 offset:76 ; 4-byte Folded Spill
	s_nop 0
	buffer_store_dword v91, off, s[68:71], 0 offset:80 ; 4-byte Folded Spill
	buffer_store_dword v92, off, s[68:71], 0 offset:84 ; 4-byte Folded Spill
	;; [unrolled: 1-line block ×3, first 2 shown]
	v_fma_f64 v[8:9], v[32:33], v[94:95], v[8:9]
	buffer_store_dword v94, off, s[68:71], 0 offset:92 ; 4-byte Folded Spill
	s_nop 0
	buffer_store_dword v95, off, s[68:71], 0 offset:96 ; 4-byte Folded Spill
	buffer_store_dword v96, off, s[68:71], 0 offset:100 ; 4-byte Folded Spill
	;; [unrolled: 1-line block ×3, first 2 shown]
	s_waitcnt vmcnt(36)
	v_mul_f64 v[28:29], v[55:56], v[116:117]
	s_waitcnt vmcnt(34)
	v_mul_f64 v[32:33], v[59:60], v[124:125]
	v_mul_f64 v[14:15], v[36:37], v[120:121]
	v_fma_f64 v[12:13], v[36:37], v[118:119], v[12:13]
	buffer_store_dword v118, off, s[68:71], 0 offset:196 ; 4-byte Folded Spill
	s_nop 0
	buffer_store_dword v119, off, s[68:71], 0 offset:200 ; 4-byte Folded Spill
	buffer_store_dword v120, off, s[68:71], 0 offset:204 ; 4-byte Folded Spill
	buffer_store_dword v121, off, s[68:71], 0 offset:208 ; 4-byte Folded Spill
	v_mul_f64 v[18:19], v[40:41], v[104:105]
	v_fma_f64 v[16:17], v[40:41], v[102:103], v[16:17]
	buffer_store_dword v102, off, s[68:71], 0 offset:132 ; 4-byte Folded Spill
	s_nop 0
	buffer_store_dword v103, off, s[68:71], 0 offset:136 ; 4-byte Folded Spill
	buffer_store_dword v104, off, s[68:71], 0 offset:140 ; 4-byte Folded Spill
	buffer_store_dword v105, off, s[68:71], 0 offset:144 ; 4-byte Folded Spill
	;; [unrolled: 7-line block ×4, first 2 shown]
	v_fma_f64 v[28:29], v[53:54], v[114:115], v[28:29]
	v_fma_f64 v[32:33], v[57:58], v[122:123], v[32:33]
	v_fma_f64 v[6:7], v[30:31], v[90:91], -v[6:7]
	v_mul_f64 v[30:31], v[53:54], v[116:117]
	buffer_store_dword v114, off, s[68:71], 0 offset:180 ; 4-byte Folded Spill
	s_nop 0
	buffer_store_dword v115, off, s[68:71], 0 offset:184 ; 4-byte Folded Spill
	buffer_store_dword v116, off, s[68:71], 0 offset:188 ; 4-byte Folded Spill
	;; [unrolled: 1-line block ×3, first 2 shown]
	v_fma_f64 v[10:11], v[34:35], v[94:95], -v[10:11]
	v_mul_f64 v[34:35], v[57:58], v[124:125]
	buffer_store_dword v122, off, s[68:71], 0 offset:212 ; 4-byte Folded Spill
	s_nop 0
	buffer_store_dword v123, off, s[68:71], 0 offset:216 ; 4-byte Folded Spill
	buffer_store_dword v124, off, s[68:71], 0 offset:220 ; 4-byte Folded Spill
	;; [unrolled: 1-line block ×3, first 2 shown]
	v_fma_f64 v[14:15], v[38:39], v[118:119], -v[14:15]
	v_fma_f64 v[18:19], v[42:43], v[102:103], -v[18:19]
	;; [unrolled: 1-line block ×6, first 2 shown]
	ds_write_b128 v48, v[4:7] offset:3264
	ds_write_b128 v48, v[8:11] offset:11424
	;; [unrolled: 1-line block ×8, first 2 shown]
	s_and_saveexec_b64 s[2:3], s[0:1]
	s_cbranch_execz .LBB0_3
; %bb.2:
	buffer_load_dword v6, off, s[68:71], 0 offset:4 ; 4-byte Folded Reload
	buffer_load_dword v7, off, s[68:71], 0 offset:8 ; 4-byte Folded Reload
	v_mov_b32_e32 v4, s19
	v_add_co_u32_e32 v10, vcc, s18, v2
	v_addc_co_u32_e32 v11, vcc, v3, v4, vcc
	global_load_dwordx4 v[2:5], v[10:11], off
	v_mov_b32_e32 v12, s15
	s_waitcnt vmcnt(2)
	v_add_co_u32_e32 v6, vcc, 0x1000, v6
	s_waitcnt vmcnt(1)
	v_addc_co_u32_e32 v7, vcc, 0, v7, vcc
	global_load_dwordx4 v[6:9], v[6:7], off offset:3520
	v_add_co_u32_e32 v18, vcc, s14, v10
	v_addc_co_u32_e32 v19, vcc, v11, v12, vcc
	global_load_dwordx4 v[10:13], v[0:1], off offset:3488
	global_load_dwordx4 v[14:17], v[18:19], off
	s_waitcnt vmcnt(2)
	v_mul_f64 v[0:1], v[4:5], v[8:9]
	v_mul_f64 v[8:9], v[2:3], v[8:9]
	s_waitcnt vmcnt(0)
	v_mul_f64 v[18:19], v[16:17], v[12:13]
	v_mul_f64 v[12:13], v[14:15], v[12:13]
	v_fma_f64 v[0:1], v[2:3], v[6:7], v[0:1]
	v_fma_f64 v[2:3], v[4:5], v[6:7], -v[8:9]
	v_fma_f64 v[4:5], v[14:15], v[10:11], v[18:19]
	v_fma_f64 v[6:7], v[16:17], v[10:11], -v[12:13]
	ds_write_b128 v48, v[0:3] offset:7616
	ds_write_b128 v48, v[4:7] offset:15776
.LBB0_3:
	s_or_b64 exec, exec, s[2:3]
	s_waitcnt vmcnt(0) lgkmcnt(0)
	s_barrier
	ds_read_b128 v[4:7], v48
	ds_read_b128 v[44:47], v48 offset:1088
	ds_read_b128 v[64:67], v48 offset:9248
	;; [unrolled: 1-line block ×13, first 2 shown]
                                        ; implicit-def: $vgpr24_vgpr25
                                        ; implicit-def: $vgpr32_vgpr33
	s_and_saveexec_b64 s[2:3], s[0:1]
	s_cbranch_execz .LBB0_5
; %bb.4:
	ds_read_b128 v[24:27], v48 offset:7616
	ds_read_b128 v[32:35], v48 offset:15776
.LBB0_5:
	s_or_b64 exec, exec, s[2:3]
	s_waitcnt lgkmcnt(3)
	v_add_f64 v[60:61], v[4:5], -v[60:61]
	v_add_f64 v[62:63], v[6:7], -v[62:63]
	;; [unrolled: 1-line block ×10, first 2 shown]
	s_waitcnt lgkmcnt(1)
	v_add_f64 v[12:13], v[16:17], -v[12:13]
	v_add_f64 v[14:15], v[18:19], -v[14:15]
	s_waitcnt lgkmcnt(0)
	v_add_f64 v[88:89], v[20:21], -v[28:29]
	v_add_f64 v[90:91], v[22:23], -v[30:31]
	;; [unrolled: 1-line block ×4, first 2 shown]
	v_fma_f64 v[56:57], v[4:5], 2.0, -v[60:61]
	v_fma_f64 v[58:59], v[6:7], 2.0, -v[62:63]
	;; [unrolled: 1-line block ×12, first 2 shown]
	s_movk_i32 s2, 0x44
	v_fma_f64 v[96:97], v[20:21], 2.0, -v[88:89]
	v_fma_f64 v[98:99], v[22:23], 2.0, -v[90:91]
	v_add_co_u32_e32 v221, vcc, s2, v170
	s_movk_i32 s2, 0x88
	v_fma_f64 v[148:149], v[24:25], 2.0, -v[152:153]
	v_fma_f64 v[150:151], v[26:27], 2.0, -v[154:155]
	v_lshl_add_u32 v16, v170, 5, v254
	v_add_co_u32_e32 v220, vcc, s2, v170
	s_movk_i32 s2, 0xcc
	s_barrier
	ds_write_b128 v16, v[56:59]
	buffer_store_dword v16, off, s[68:71], 0 offset:340 ; 4-byte Folded Spill
	ds_write_b128 v16, v[60:63] offset:16
	v_lshl_add_u32 v16, v221, 5, v254
	v_add_co_u32_e32 v53, vcc, s2, v170
	s_movk_i32 s2, 0x110
	ds_write_b128 v16, v[68:71]
	buffer_store_dword v16, off, s[68:71], 0 offset:348 ; 4-byte Folded Spill
	ds_write_b128 v16, v[64:67] offset:16
	v_lshl_add_u32 v16, v220, 5, v254
	s_load_dwordx2 s[4:5], s[4:5], 0x8
	v_add_co_u32_e32 v55, vcc, s2, v170
	s_movk_i32 s2, 0x154
	ds_write_b128 v16, v[4:7]
	buffer_store_dword v16, off, s[68:71], 0 offset:364 ; 4-byte Folded Spill
	ds_write_b128 v16, v[0:3] offset:16
	v_lshl_add_u32 v16, v53, 5, v254
	v_add_co_u32_e32 v169, vcc, s2, v170
	s_movk_i32 s2, 0x198
	ds_write_b128 v16, v[76:79]
	buffer_store_dword v16, off, s[68:71], 0 offset:372 ; 4-byte Folded Spill
	ds_write_b128 v16, v[72:75] offset:16
	v_lshl_add_u32 v16, v55, 5, v254
	;; [unrolled: 6-line block ×3, first 2 shown]
	v_add_co_u32_e32 v54, vcc, s2, v170
	ds_write_b128 v16, v[84:87]
	buffer_store_dword v16, off, s[68:71], 0 offset:388 ; 4-byte Folded Spill
	ds_write_b128 v16, v[12:15] offset:16
	v_lshl_add_u32 v16, v168, 5, v254
	ds_write_b128 v16, v[96:99]
	buffer_store_dword v16, off, s[68:71], 0 offset:396 ; 4-byte Folded Spill
	ds_write_b128 v16, v[88:91] offset:16
	v_lshl_add_u32 v16, v54, 5, v254
	buffer_store_dword v16, off, s[68:71], 0 offset:444 ; 4-byte Folded Spill
	s_and_saveexec_b64 s[2:3], s[0:1]
	s_cbranch_execz .LBB0_7
; %bb.6:
	v_lshl_add_u32 v16, v54, 5, v254
	ds_write_b128 v16, v[148:151]
	ds_write_b128 v16, v[152:155] offset:16
.LBB0_7:
	s_or_b64 exec, exec, s[2:3]
	v_cmp_gt_u16_e64 s[2:3], 60, v170
	s_waitcnt vmcnt(0) lgkmcnt(0)
	s_barrier
	s_waitcnt lgkmcnt(0)
                                        ; implicit-def: $vgpr16_vgpr17
	s_and_saveexec_b64 s[14:15], s[2:3]
	s_cbranch_execz .LBB0_9
; %bb.8:
	ds_read_b128 v[56:59], v48
	ds_read_b128 v[60:63], v48 offset:960
	ds_read_b128 v[68:71], v48 offset:1920
	;; [unrolled: 1-line block ×16, first 2 shown]
.LBB0_9:
	s_or_b64 exec, exec, s[14:15]
	v_and_b32_e32 v20, 1, v170
	buffer_store_dword v20, off, s[68:71], 0 offset:248 ; 4-byte Folded Spill
	v_lshlrev_b32_e32 v20, 8, v20
	global_load_dwordx4 v[120:123], v20, s[4:5]
	global_load_dwordx4 v[112:115], v20, s[4:5] offset:16
	global_load_dwordx4 v[100:103], v20, s[4:5] offset:32
	;; [unrolled: 1-line block ×15, first 2 shown]
	s_mov_b32 s34, 0x5d8e7cdc
	s_mov_b32 s35, 0xbfd71e95
	s_mov_b32 s26, 0x2a9d6da3
	s_mov_b32 s27, 0xbfe58eea
	s_mov_b32 s14, 0x370991
	s_mov_b32 s15, 0x3fedd6d0
	s_mov_b32 s20, 0x75d4884
	s_mov_b32 s28, 0xeb564b22
	s_mov_b32 s21, 0x3fe7a5f6
	s_mov_b32 s29, 0xbfefdd0d
	s_mov_b32 s24, 0x7c9e640b
	s_mov_b32 s25, 0xbfeca52d
	s_mov_b32 s22, 0x3259b75e
	s_mov_b32 s23, 0x3fb79ee6
	s_mov_b32 s18, 0x2b2883cd
	s_mov_b32 s19, 0x3fdc86fa
	s_mov_b32 s46, 0x923c349f
	s_mov_b32 s47, 0x3feec746
	s_mov_b32 s53, 0xbfeec746
	s_mov_b32 s52, s46
	s_mov_b32 s44, 0x6c9a05f6
	s_mov_b32 s38, 0xc61f0d01
	s_mov_b32 s45, 0xbfe9895b
	s_mov_b32 s39, 0xbfd183b1
	s_mov_b32 s30, 0x6ed5f1bb
	s_mov_b32 s56, 0x4363dd80
	s_mov_b32 s31, 0xbfe348c8
	s_mov_b32 s57, 0x3fe0d888
	s_mov_b32 s55, 0xbfe0d888
	s_mov_b32 s54, s56
	s_mov_b32 s48, 0xacd6c6b4
	s_mov_b32 s40, 0x910ea3b9
	s_mov_b32 s49, 0x3fc7851a
	s_mov_b32 s51, 0xbfc7851a
	s_mov_b32 s50, s48
	s_mov_b32 s41, 0xbfeb34fa
	s_mov_b32 s42, 0x7faef3
	s_mov_b32 s43, 0xbfef7484
	s_mov_b32 s63, 0x3feca52d
	s_mov_b32 s62, s24
	s_mov_b32 s59, 0x3fd71e95
	s_mov_b32 s58, s34
	s_mov_b32 s61, 0x3fe58eea
	s_mov_b32 s60, s26
	s_waitcnt vmcnt(15) lgkmcnt(14)
	v_mul_f64 v[22:23], v[60:61], v[122:123]
	s_waitcnt vmcnt(14)
	v_mul_f64 v[24:25], v[70:71], v[114:115]
	s_waitcnt vmcnt(13) lgkmcnt(13)
	v_mul_f64 v[28:29], v[66:67], v[102:103]
	v_mul_f64 v[20:21], v[62:63], v[122:123]
	;; [unrolled: 1-line block ×4, first 2 shown]
	s_waitcnt vmcnt(9) lgkmcnt(9)
	v_mul_f64 v[44:45], v[74:75], v[118:119]
	v_mul_f64 v[46:47], v[72:73], v[118:119]
	v_fma_f64 v[192:193], v[62:63], v[120:121], v[22:23]
	s_waitcnt vmcnt(6) lgkmcnt(6)
	v_mul_f64 v[200:201], v[84:85], v[142:143]
	v_fma_f64 v[228:229], v[68:69], v[112:113], -v[24:25]
	s_waitcnt vmcnt(4) lgkmcnt(4)
	v_mul_f64 v[206:207], v[98:99], v[130:131]
	v_fma_f64 v[62:63], v[64:65], v[100:101], -v[28:29]
	v_mul_f64 v[198:199], v[86:87], v[142:143]
	s_waitcnt vmcnt(1) lgkmcnt(1)
	v_mul_f64 v[218:219], v[154:155], v[158:159]
	v_fma_f64 v[28:29], v[72:73], v[116:117], -v[44:45]
	s_waitcnt vmcnt(0) lgkmcnt(0)
	v_mul_f64 v[224:225], v[18:19], v[110:111]
	v_fma_f64 v[179:180], v[86:87], v[140:141], v[200:201]
	v_mul_f64 v[222:223], v[152:153], v[158:159]
	v_fma_f64 v[86:87], v[96:97], v[128:129], -v[206:207]
	v_mul_f64 v[226:227], v[16:17], v[110:111]
	v_fma_f64 v[189:190], v[60:61], v[120:121], -v[20:21]
	v_fma_f64 v[72:73], v[152:153], v[156:157], -v[218:219]
	v_mul_f64 v[34:35], v[4:5], v[94:95]
	v_fma_f64 v[68:69], v[16:17], v[108:109], -v[224:225]
	v_mul_f64 v[38:39], v[0:1], v[138:139]
	v_mul_f64 v[202:203], v[14:15], v[134:135]
	v_fma_f64 v[187:188], v[70:71], v[112:113], v[26:27]
	v_fma_f64 v[64:65], v[66:67], v[100:101], v[30:31]
	;; [unrolled: 1-line block ×3, first 2 shown]
	v_add_f64 v[206:207], v[228:229], v[72:73]
	buffer_store_dword v228, off, s[68:71], 0 offset:476 ; 4-byte Folded Spill
	s_nop 0
	buffer_store_dword v229, off, s[68:71], 0 offset:480 ; 4-byte Folded Spill
	v_fma_f64 v[70:71], v[18:19], v[108:109], v[226:227]
	v_fma_f64 v[74:75], v[154:155], v[156:157], v[222:223]
	v_add_f64 v[222:223], v[189:190], -v[68:69]
	v_mul_f64 v[32:33], v[6:7], v[94:95]
	v_mul_f64 v[36:37], v[2:3], v[138:139]
	v_mul_f64 v[40:41], v[78:79], v[126:127]
	v_mul_f64 v[51:52], v[8:9], v[106:107]
	v_mul_f64 v[204:205], v[12:13], v[134:135]
	v_mul_f64 v[214:215], v[150:151], v[162:163]
	v_fma_f64 v[60:61], v[6:7], v[92:93], v[34:35]
	v_fma_f64 v[34:35], v[2:3], v[136:137], v[38:39]
	v_fma_f64 v[173:174], v[12:13], v[132:133], -v[202:203]
	v_add_f64 v[12:13], v[192:193], -v[70:71]
	v_mul_f64 v[2:3], v[222:223], s[34:35]
	v_mul_f64 v[42:43], v[76:77], v[126:127]
	;; [unrolled: 1-line block ×3, first 2 shown]
	v_fma_f64 v[20:21], v[4:5], v[92:93], -v[32:33]
	v_fma_f64 v[26:27], v[76:77], v[124:125], -v[40:41]
	v_fma_f64 v[24:25], v[10:11], v[104:105], v[51:52]
	v_fma_f64 v[76:77], v[148:149], v[160:161], -v[214:215]
	v_mul_f64 v[4:5], v[12:13], s[26:27]
	v_mul_f64 v[6:7], v[222:223], s[26:27]
	buffer_store_dword v2, off, s[68:71], 0 offset:324 ; 4-byte Folded Spill
	s_nop 0
	buffer_store_dword v3, off, s[68:71], 0 offset:328 ; 4-byte Folded Spill
	v_mul_f64 v[210:211], v[90:91], v[166:167]
	v_mul_f64 v[196:197], v[80:81], v[146:147]
	;; [unrolled: 1-line block ×3, first 2 shown]
	v_fma_f64 v[32:33], v[78:79], v[124:125], v[42:43]
	v_add_f64 v[202:203], v[62:63], v[76:77]
	buffer_store_dword v62, off, s[68:71], 0 offset:460 ; 4-byte Folded Spill
	s_nop 0
	buffer_store_dword v63, off, s[68:71], 0 offset:464 ; 4-byte Folded Spill
	buffer_store_dword v4, off, s[68:71], 0 offset:308 ; 4-byte Folded Spill
	s_nop 0
	buffer_store_dword v5, off, s[68:71], 0 offset:312 ; 4-byte Folded Spill
	;; [unrolled: 3-line block ×3, first 2 shown]
	v_fma_f64 v[78:79], v[88:89], v[164:165], -v[210:211]
	v_add_f64 v[210:211], v[192:193], v[70:71]
	v_mul_f64 v[194:195], v[82:83], v[146:147]
	v_fma_f64 v[183:184], v[82:83], v[144:145], v[196:197]
	v_fma_f64 v[175:176], v[14:15], v[132:133], v[204:205]
	;; [unrolled: 1-line block ×3, first 2 shown]
	v_add_f64 v[14:15], v[187:188], -v[74:75]
	v_add_f64 v[204:205], v[187:188], v[74:75]
	v_fma_f64 v[22:23], v[0:1], v[136:137], -v[36:37]
	v_add_f64 v[236:237], v[20:21], -v[78:79]
	v_mul_f64 v[208:209], v[96:97], v[130:131]
	v_mul_f64 v[212:213], v[88:89], v[166:167]
	v_fma_f64 v[177:178], v[84:85], v[140:141], -v[198:199]
	v_add_f64 v[242:243], v[64:65], -v[82:83]
	v_mul_f64 v[16:17], v[14:15], s[28:29]
	v_mul_f64 v[148:149], v[12:13], s[34:35]
	;; [unrolled: 1-line block ×3, first 2 shown]
	v_fma_f64 v[185:186], v[8:9], v[104:105], -v[49:50]
	v_fma_f64 v[171:172], v[98:99], v[128:129], v[208:209]
	v_add_f64 v[208:209], v[189:190], v[68:69]
	v_fma_f64 v[84:85], v[90:91], v[164:165], v[212:213]
	v_fma_f64 v[181:182], v[80:81], v[144:145], -v[194:195]
	v_add_f64 v[66:67], v[28:29], -v[177:178]
	v_mul_f64 v[40:41], v[222:223], s[24:25]
	v_fma_f64 v[8:9], v[206:207], s[20:21], v[152:153]
	v_mul_f64 v[44:45], v[236:237], s[46:47]
	v_fma_f64 v[0:1], v[208:209], s[14:15], v[148:149]
	v_add_f64 v[246:247], v[60:61], -v[84:85]
	v_add_f64 v[196:197], v[185:186], v[181:182]
	v_mul_f64 v[218:219], v[66:67], s[62:63]
	v_mul_f64 v[248:249], v[66:67], s[28:29]
	v_add_f64 v[0:1], v[56:57], v[0:1]
	v_add_f64 v[0:1], v[8:9], v[0:1]
	v_add_f64 v[224:225], v[228:229], -v[72:73]
	v_mul_f64 v[10:11], v[224:225], s[26:27]
	v_mul_f64 v[36:37], v[224:225], s[28:29]
	;; [unrolled: 1-line block ×3, first 2 shown]
	buffer_store_dword v10, off, s[68:71], 0 offset:316 ; 4-byte Folded Spill
	s_nop 0
	buffer_store_dword v11, off, s[68:71], 0 offset:320 ; 4-byte Folded Spill
	buffer_store_dword v16, off, s[68:71], 0 offset:356 ; 4-byte Folded Spill
	s_nop 0
	buffer_store_dword v17, off, s[68:71], 0 offset:360 ; 4-byte Folded Spill
	buffer_store_dword v64, off, s[68:71], 0 offset:468 ; 4-byte Folded Spill
	s_nop 0
	buffer_store_dword v65, off, s[68:71], 0 offset:472 ; 4-byte Folded Spill
	buffer_store_dword v36, off, s[68:71], 0 offset:484 ; 4-byte Folded Spill
	s_nop 0
	buffer_store_dword v37, off, s[68:71], 0 offset:488 ; 4-byte Folded Spill
	v_fma_f64 v[2:3], v[210:211], s[14:15], -v[2:3]
	v_add_f64 v[230:231], v[62:63], -v[76:77]
	v_fma_f64 v[4:5], v[208:209], s[20:21], v[4:5]
	v_add_f64 v[2:3], v[58:59], v[2:3]
	v_fma_f64 v[6:7], v[210:211], s[20:21], -v[6:7]
	v_mul_f64 v[62:63], v[236:237], s[50:51]
	v_mul_f64 v[18:19], v[230:231], s[24:25]
	v_add_f64 v[4:5], v[56:57], v[4:5]
	v_mul_f64 v[46:47], v[230:231], s[48:49]
	v_add_f64 v[6:7], v[58:59], v[6:7]
	v_fma_f64 v[10:11], v[204:205], s[20:21], -v[10:11]
	v_fma_f64 v[16:17], v[206:207], s[22:23], v[16:17]
	v_add_f64 v[212:213], v[64:65], v[82:83]
	v_fma_f64 v[8:9], v[204:205], s[22:23], -v[36:37]
	v_add_f64 v[64:65], v[32:33], -v[175:176]
	v_add_f64 v[2:3], v[10:11], v[2:3]
	v_mul_f64 v[10:11], v[242:243], s[24:25]
	v_add_f64 v[4:5], v[16:17], v[4:5]
	v_add_f64 v[6:7], v[8:9], v[6:7]
	v_mul_f64 v[228:229], v[64:65], s[34:35]
	buffer_store_dword v10, off, s[68:71], 0 offset:412 ; 4-byte Folded Spill
	s_nop 0
	buffer_store_dword v11, off, s[68:71], 0 offset:416 ; 4-byte Folded Spill
	buffer_store_dword v18, off, s[68:71], 0 offset:420 ; 4-byte Folded Spill
	s_nop 0
	buffer_store_dword v19, off, s[68:71], 0 offset:424 ; 4-byte Folded Spill
	;; [unrolled: 3-line block ×4, first 2 shown]
	v_fma_f64 v[10:11], v[202:203], s[18:19], v[10:11]
	v_fma_f64 v[16:17], v[212:213], s[18:19], -v[18:19]
	v_add_f64 v[214:215], v[20:21], v[78:79]
	v_mul_f64 v[18:19], v[246:247], s[28:29]
	v_mul_f64 v[20:21], v[236:237], s[28:29]
	buffer_store_dword v18, off, s[68:71], 0 offset:492 ; 4-byte Folded Spill
	s_nop 0
	buffer_store_dword v19, off, s[68:71], 0 offset:496 ; 4-byte Folded Spill
	buffer_store_dword v20, off, s[68:71], 0 offset:500 ; 4-byte Folded Spill
	s_nop 0
	buffer_store_dword v21, off, s[68:71], 0 offset:504 ; 4-byte Folded Spill
	v_add_f64 v[216:217], v[60:61], v[84:85]
	v_add_f64 v[0:1], v[10:11], v[0:1]
	;; [unrolled: 1-line block ×3, first 2 shown]
	v_add_f64 v[16:17], v[22:23], -v[86:87]
	buffer_store_dword v22, off, s[68:71], 0 offset:332 ; 4-byte Folded Spill
	s_nop 0
	buffer_store_dword v23, off, s[68:71], 0 offset:336 ; 4-byte Folded Spill
	v_mul_f64 v[36:37], v[16:17], s[52:53]
	v_mul_f64 v[60:61], v[16:17], s[56:57]
	;; [unrolled: 1-line block ×3, first 2 shown]
	v_fma_f64 v[10:11], v[214:215], s[22:23], v[18:19]
	v_fma_f64 v[18:19], v[216:217], s[22:23], -v[20:21]
	v_add_f64 v[20:21], v[34:35], -v[171:172]
	buffer_store_dword v34, off, s[68:71], 0 offset:404 ; 4-byte Folded Spill
	s_nop 0
	buffer_store_dword v35, off, s[68:71], 0 offset:408 ; 4-byte Folded Spill
	v_add_f64 v[250:251], v[22:23], v[86:87]
	v_add_f64 v[22:23], v[26:27], -v[173:174]
	v_add_f64 v[0:1], v[10:11], v[0:1]
	v_add_f64 v[2:3], v[18:19], v[2:3]
	v_mul_f64 v[240:241], v[20:21], s[60:61]
	v_mul_f64 v[200:201], v[22:23], s[46:47]
	;; [unrolled: 1-line block ×3, first 2 shown]
	v_add_f64 v[252:253], v[34:35], v[171:172]
	v_mul_f64 v[34:35], v[20:21], s[52:53]
	buffer_store_dword v34, off, s[68:71], 0 offset:516 ; 4-byte Folded Spill
	s_nop 0
	buffer_store_dword v35, off, s[68:71], 0 offset:520 ; 4-byte Folded Spill
	buffer_store_dword v36, off, s[68:71], 0 offset:524 ; 4-byte Folded Spill
	s_nop 0
	buffer_store_dword v37, off, s[68:71], 0 offset:528 ; 4-byte Folded Spill
	;; [unrolled: 3-line block ×4, first 2 shown]
	v_fma_f64 v[10:11], v[250:251], s[38:39], v[34:35]
	v_mul_f64 v[34:35], v[22:23], s[44:45]
	v_add_f64 v[80:81], v[26:27], v[173:174]
	v_add_f64 v[150:151], v[32:33], v[175:176]
	v_mul_f64 v[32:33], v[64:65], s[44:45]
	v_add_f64 v[26:27], v[30:31], -v[179:180]
	buffer_store_dword v32, off, s[68:71], 0 offset:532 ; 4-byte Folded Spill
	s_nop 0
	buffer_store_dword v33, off, s[68:71], 0 offset:536 ; 4-byte Folded Spill
	buffer_store_dword v34, off, s[68:71], 0 offset:540 ; 4-byte Folded Spill
	s_nop 0
	buffer_store_dword v35, off, s[68:71], 0 offset:544 ; 4-byte Folded Spill
	;; [unrolled: 3-line block ×4, first 2 shown]
	v_add_f64 v[0:1], v[10:11], v[0:1]
	v_fma_f64 v[18:19], v[252:253], s[38:39], -v[36:37]
	v_add_f64 v[36:37], v[24:25], -v[183:184]
	v_mul_f64 v[226:227], v[26:27], s[28:29]
	v_add_f64 v[2:3], v[18:19], v[2:3]
	v_mul_f64 v[238:239], v[36:37], s[54:55]
	v_fma_f64 v[10:11], v[80:81], s[30:31], v[32:33]
	v_mul_f64 v[32:33], v[66:67], s[54:55]
	v_fma_f64 v[18:19], v[150:151], s[30:31], -v[34:35]
	v_add_f64 v[194:195], v[30:31], v[179:180]
	v_mul_f64 v[30:31], v[26:27], s[54:55]
	buffer_store_dword v30, off, s[68:71], 0 offset:548 ; 4-byte Folded Spill
	s_nop 0
	buffer_store_dword v31, off, s[68:71], 0 offset:552 ; 4-byte Folded Spill
	buffer_store_dword v32, off, s[68:71], 0 offset:556 ; 4-byte Folded Spill
	s_nop 0
	buffer_store_dword v33, off, s[68:71], 0 offset:560 ; 4-byte Folded Spill
	buffer_store_dword v24, off, s[68:71], 0 offset:252 ; 4-byte Folded Spill
	s_nop 0
	buffer_store_dword v25, off, s[68:71], 0 offset:256 ; 4-byte Folded Spill
	v_add_f64 v[154:155], v[28:29], v[177:178]
	v_add_f64 v[28:29], v[185:186], -v[181:182]
	v_add_f64 v[2:3], v[18:19], v[2:3]
	v_add_f64 v[0:1], v[10:11], v[0:1]
	v_mul_f64 v[34:35], v[12:13], s[24:25]
	v_mul_f64 v[51:52], v[28:29], s[58:59]
	;; [unrolled: 1-line block ×3, first 2 shown]
	v_fma_f64 v[10:11], v[154:155], s[40:41], v[30:31]
	v_fma_f64 v[18:19], v[194:195], s[40:41], -v[32:33]
	v_add_f64 v[198:199], v[24:25], v[183:184]
	v_mul_f64 v[24:25], v[36:37], s[50:51]
	v_mul_f64 v[30:31], v[28:29], s[50:51]
	buffer_store_dword v24, off, s[68:71], 0 offset:564 ; 4-byte Folded Spill
	s_nop 0
	buffer_store_dword v25, off, s[68:71], 0 offset:568 ; 4-byte Folded Spill
	v_add_f64 v[2:3], v[18:19], v[2:3]
	v_mul_f64 v[18:19], v[242:243], s[44:45]
	buffer_store_dword v30, off, s[68:71], 0 offset:572 ; 4-byte Folded Spill
	s_nop 0
	buffer_store_dword v31, off, s[68:71], 0 offset:576 ; 4-byte Folded Spill
	buffer_store_dword v18, off, s[68:71], 0 offset:580 ; 4-byte Folded Spill
	s_nop 0
	buffer_store_dword v19, off, s[68:71], 0 offset:584 ; 4-byte Folded Spill
	v_add_f64 v[0:1], v[10:11], v[0:1]
	v_mul_f64 v[32:33], v[242:243], s[48:49]
	v_fma_f64 v[8:9], v[196:197], s[42:43], v[24:25]
	v_mul_f64 v[24:25], v[246:247], s[46:47]
	v_fma_f64 v[10:11], v[198:199], s[42:43], -v[30:31]
	v_mul_f64 v[30:31], v[14:15], s[44:45]
	v_add_f64 v[232:233], v[8:9], v[0:1]
	v_mul_f64 v[8:9], v[26:27], s[62:63]
	v_fma_f64 v[0:1], v[202:203], s[30:31], v[18:19]
	v_mul_f64 v[18:19], v[230:231], s[44:45]
	v_add_f64 v[234:235], v[10:11], v[2:3]
	v_mul_f64 v[10:11], v[36:37], s[58:59]
	v_add_f64 v[0:1], v[0:1], v[4:5]
	v_mul_f64 v[4:5], v[246:247], s[50:51]
	buffer_store_dword v4, off, s[68:71], 0 offset:596 ; 4-byte Folded Spill
	s_nop 0
	buffer_store_dword v5, off, s[68:71], 0 offset:600 ; 4-byte Folded Spill
	v_fma_f64 v[2:3], v[212:213], s[30:31], -v[18:19]
	v_add_f64 v[2:3], v[2:3], v[6:7]
	v_mul_f64 v[6:7], v[64:65], s[46:47]
	v_fma_f64 v[4:5], v[214:215], s[42:43], v[4:5]
	v_add_f64 v[0:1], v[4:5], v[0:1]
	v_fma_f64 v[4:5], v[216:217], s[42:43], -v[62:63]
	v_add_f64 v[2:3], v[4:5], v[2:3]
	v_mul_f64 v[4:5], v[20:21], s[56:57]
	buffer_store_dword v4, off, s[68:71], 0 offset:588 ; 4-byte Folded Spill
	s_nop 0
	buffer_store_dword v5, off, s[68:71], 0 offset:592 ; 4-byte Folded Spill
	s_waitcnt vmcnt(0)
	s_barrier
	v_fma_f64 v[4:5], v[250:251], s[40:41], v[4:5]
	v_add_f64 v[0:1], v[4:5], v[0:1]
	v_fma_f64 v[4:5], v[252:253], s[40:41], -v[60:61]
	v_add_f64 v[2:3], v[4:5], v[2:3]
	v_fma_f64 v[4:5], v[80:81], s[38:39], v[6:7]
	v_add_f64 v[0:1], v[4:5], v[0:1]
	v_fma_f64 v[4:5], v[150:151], s[38:39], -v[200:201]
	v_add_f64 v[2:3], v[4:5], v[2:3]
	;; [unrolled: 4-line block ×3, first 2 shown]
	v_fma_f64 v[4:5], v[196:197], s[14:15], v[10:11]
	v_add_f64 v[96:97], v[4:5], v[0:1]
	v_fma_f64 v[0:1], v[198:199], s[14:15], -v[51:52]
	v_fma_f64 v[4:5], v[204:205], s[30:31], -v[42:43]
	v_add_f64 v[98:99], v[0:1], v[2:3]
	v_fma_f64 v[0:1], v[208:209], s[18:19], v[34:35]
	v_fma_f64 v[2:3], v[206:207], s[30:31], v[30:31]
	v_add_f64 v[0:1], v[56:57], v[0:1]
	v_add_f64 v[0:1], v[2:3], v[0:1]
	v_fma_f64 v[2:3], v[210:211], s[18:19], -v[40:41]
	v_add_f64 v[2:3], v[58:59], v[2:3]
	v_add_f64 v[2:3], v[4:5], v[2:3]
	v_fma_f64 v[4:5], v[202:203], s[42:43], v[32:33]
	v_add_f64 v[0:1], v[4:5], v[0:1]
	v_fma_f64 v[4:5], v[212:213], s[42:43], -v[46:47]
	v_add_f64 v[2:3], v[4:5], v[2:3]
	v_fma_f64 v[4:5], v[214:215], s[38:39], v[24:25]
	v_add_f64 v[0:1], v[4:5], v[0:1]
	v_fma_f64 v[4:5], v[216:217], s[38:39], -v[44:45]
	;; [unrolled: 4-line block ×6, first 2 shown]
	v_add_f64 v[90:91], v[0:1], v[2:3]
	s_mov_b64 s[36:37], exec
	s_and_b64 s[64:65], s[36:37], s[2:3]
	buffer_store_dword v170, off, s[68:71], 0 ; 4-byte Folded Spill
	buffer_store_dword v254, off, s[68:71], 0 offset:244 ; 4-byte Folded Spill
	s_mov_b64 exec, s[64:65]
	s_cbranch_execz .LBB0_11
; %bb.10:
	v_mul_f64 v[0:1], v[210:211], s[42:43]
	v_mul_f64 v[2:3], v[204:205], s[14:15]
	buffer_store_dword v6, off, s[68:71], 0 offset:620 ; 4-byte Folded Spill
	s_nop 0
	buffer_store_dword v7, off, s[68:71], 0 offset:624 ; 4-byte Folded Spill
	buffer_store_dword v8, off, s[68:71], 0 offset:668 ; 4-byte Folded Spill
	s_nop 0
	buffer_store_dword v9, off, s[68:71], 0 offset:672 ; 4-byte Folded Spill
	;; [unrolled: 3-line block ×3, first 2 shown]
	v_mul_f64 v[10:11], v[14:15], s[58:59]
	buffer_store_dword v68, off, s[68:71], 0 offset:628 ; 4-byte Folded Spill
	s_nop 0
	buffer_store_dword v69, off, s[68:71], 0 offset:632 ; 4-byte Folded Spill
	buffer_store_dword v70, off, s[68:71], 0 offset:636 ; 4-byte Folded Spill
	s_nop 0
	buffer_store_dword v71, off, s[68:71], 0 offset:640 ; 4-byte Folded Spill
	v_fma_f64 v[4:5], v[222:223], s[48:49], v[0:1]
	v_fma_f64 v[6:7], v[224:225], s[34:35], v[2:3]
	buffer_store_dword v72, off, s[68:71], 0 offset:652 ; 4-byte Folded Spill
	s_nop 0
	buffer_store_dword v73, off, s[68:71], 0 offset:656 ; 4-byte Folded Spill
	buffer_store_dword v74, off, s[68:71], 0 offset:660 ; 4-byte Folded Spill
	s_nop 0
	buffer_store_dword v75, off, s[68:71], 0 offset:664 ; 4-byte Folded Spill
	;; [unrolled: 3-line block ×3, first 2 shown]
	v_fma_f64 v[68:69], v[206:207], s[14:15], v[10:11]
	s_mov_b32 s65, 0x3fe9895b
	s_mov_b32 s64, s44
	v_add_f64 v[4:5], v[58:59], v[4:5]
	buffer_store_dword v78, off, s[68:71], 0 offset:684 ; 4-byte Folded Spill
	s_nop 0
	buffer_store_dword v79, off, s[68:71], 0 offset:688 ; 4-byte Folded Spill
	v_fma_f64 v[0:1], v[222:223], s[50:51], v[0:1]
	v_fma_f64 v[2:3], v[224:225], s[58:59], v[2:3]
	buffer_store_dword v171, off, s[68:71], 0 offset:716 ; 4-byte Folded Spill
	s_nop 0
	buffer_store_dword v172, off, s[68:71], 0 offset:720 ; 4-byte Folded Spill
	buffer_store_dword v173, off, s[68:71], 0 offset:732 ; 4-byte Folded Spill
	s_nop 0
	buffer_store_dword v174, off, s[68:71], 0 offset:736 ; 4-byte Folded Spill
	;; [unrolled: 3-line block ×4, first 2 shown]
	v_add_f64 v[4:5], v[6:7], v[4:5]
	v_mul_f64 v[6:7], v[12:13], s[50:51]
	v_add_f64 v[0:1], v[58:59], v[0:1]
	buffer_store_dword v86, off, s[68:71], 0 offset:740 ; 4-byte Folded Spill
	s_nop 0
	buffer_store_dword v87, off, s[68:71], 0 offset:744 ; 4-byte Folded Spill
	s_mov_b32 s67, 0x3fefdd0d
	s_mov_b32 s66, s28
	buffer_store_dword v189, off, s[68:71], 0 offset:756 ; 4-byte Folded Spill
	s_nop 0
	buffer_store_dword v190, off, s[68:71], 0 offset:760 ; 4-byte Folded Spill
	buffer_store_dword v187, off, s[68:71], 0 offset:748 ; 4-byte Folded Spill
	s_nop 0
	buffer_store_dword v188, off, s[68:71], 0 offset:752 ; 4-byte Folded Spill
	v_fma_f64 v[8:9], v[208:209], s[42:43], v[6:7]
	v_add_f64 v[0:1], v[2:3], v[0:1]
	v_fma_f64 v[2:3], v[208:209], s[42:43], -v[6:7]
	v_fma_f64 v[6:7], v[206:207], s[14:15], -v[10:11]
	v_add_f64 v[8:9], v[56:57], v[8:9]
	v_add_f64 v[2:3], v[56:57], v[2:3]
	;; [unrolled: 1-line block ×3, first 2 shown]
	v_mul_f64 v[68:69], v[212:213], s[40:41]
	v_add_f64 v[2:3], v[6:7], v[2:3]
	v_fma_f64 v[70:71], v[230:231], s[56:57], v[68:69]
	v_fma_f64 v[6:7], v[230:231], s[54:55], v[68:69]
	v_add_f64 v[4:5], v[70:71], v[4:5]
	v_mul_f64 v[70:71], v[242:243], s[54:55]
	v_add_f64 v[0:1], v[6:7], v[0:1]
	v_fma_f64 v[72:73], v[202:203], s[40:41], v[70:71]
	v_fma_f64 v[6:7], v[202:203], s[40:41], -v[70:71]
	v_add_f64 v[8:9], v[72:73], v[8:9]
	v_mul_f64 v[72:73], v[216:217], s[20:21]
	v_add_f64 v[2:3], v[6:7], v[2:3]
	v_fma_f64 v[74:75], v[236:237], s[26:27], v[72:73]
	v_fma_f64 v[6:7], v[236:237], s[60:61], v[72:73]
	v_mul_f64 v[72:73], v[150:151], s[42:43]
	v_add_f64 v[4:5], v[74:75], v[4:5]
	v_mul_f64 v[74:75], v[246:247], s[60:61]
	v_add_f64 v[0:1], v[6:7], v[0:1]
	v_fma_f64 v[76:77], v[214:215], s[20:21], v[74:75]
	v_add_f64 v[8:9], v[76:77], v[8:9]
	v_mul_f64 v[76:77], v[252:253], s[30:31]
	v_fma_f64 v[78:79], v[16:17], s[64:65], v[76:77]
	v_fma_f64 v[6:7], v[16:17], s[44:45], v[76:77]
	v_mul_f64 v[76:77], v[12:13], s[54:55]
	v_add_f64 v[4:5], v[78:79], v[4:5]
	v_mul_f64 v[78:79], v[20:21], s[44:45]
	v_add_f64 v[0:1], v[6:7], v[0:1]
	v_fma_f64 v[254:255], v[250:251], s[30:31], v[78:79]
	v_add_f64 v[8:9], v[254:255], v[8:9]
	v_mul_f64 v[254:255], v[150:151], s[18:19]
	;; [unrolled: 9-line block ×3, first 2 shown]
	v_fma_f64 v[82:83], v[66:67], s[46:47], v[172:173]
	v_fma_f64 v[6:7], v[66:67], s[52:53], v[172:173]
	v_mul_f64 v[172:173], v[26:27], s[60:61]
	v_add_f64 v[4:5], v[82:83], v[4:5]
	v_mul_f64 v[82:83], v[26:27], s[52:53]
	v_add_f64 v[0:1], v[6:7], v[0:1]
	v_fma_f64 v[6:7], v[214:215], s[20:21], -v[74:75]
	v_mul_f64 v[74:75], v[194:195], s[20:21]
	v_fma_f64 v[84:85], v[154:155], s[38:39], v[82:83]
	v_add_f64 v[2:3], v[6:7], v[2:3]
	v_fma_f64 v[6:7], v[250:251], s[30:31], -v[78:79]
	v_mul_f64 v[78:79], v[14:15], s[62:63]
	v_add_f64 v[8:9], v[84:85], v[8:9]
	v_mul_f64 v[84:85], v[198:199], s[22:23]
	v_add_f64 v[2:3], v[6:7], v[2:3]
	v_fma_f64 v[6:7], v[80:81], s[18:19], -v[170:171]
	v_fma_f64 v[70:71], v[206:207], s[18:19], v[78:79]
	v_mul_f64 v[170:171], v[64:65], s[50:51]
	v_fma_f64 v[86:87], v[28:29], s[28:29], v[84:85]
	v_add_f64 v[2:3], v[6:7], v[2:3]
	v_fma_f64 v[6:7], v[154:155], s[38:39], -v[82:83]
	v_mul_f64 v[82:83], v[242:243], s[28:29]
	v_add_f64 v[189:190], v[86:87], v[4:5]
	v_mul_f64 v[4:5], v[36:37], s[66:67]
	v_add_f64 v[2:3], v[6:7], v[2:3]
	v_fma_f64 v[6:7], v[28:29], s[66:67], v[84:85]
	v_mul_f64 v[84:85], v[246:247], s[64:65]
	v_fma_f64 v[86:87], v[196:197], s[22:23], v[4:5]
	v_fma_f64 v[4:5], v[196:197], s[22:23], -v[4:5]
	v_add_f64 v[6:7], v[6:7], v[0:1]
	v_mul_f64 v[0:1], v[210:211], s[40:41]
	v_add_f64 v[187:188], v[86:87], v[8:9]
	v_add_f64 v[4:5], v[4:5], v[2:3]
	buffer_store_dword v187, off, s[68:71], 0 offset:604 ; 4-byte Folded Spill
	s_nop 0
	buffer_store_dword v188, off, s[68:71], 0 offset:608 ; 4-byte Folded Spill
	buffer_store_dword v189, off, s[68:71], 0 offset:612 ; 4-byte Folded Spill
	;; [unrolled: 1-line block ×4, first 2 shown]
	s_nop 0
	buffer_store_dword v5, off, s[68:71], 0 offset:696 ; 4-byte Folded Spill
	buffer_store_dword v6, off, s[68:71], 0 offset:700 ; 4-byte Folded Spill
	;; [unrolled: 1-line block ×3, first 2 shown]
	v_fma_f64 v[2:3], v[222:223], s[56:57], v[0:1]
	v_mul_f64 v[4:5], v[204:205], s[18:19]
	v_fma_f64 v[0:1], v[222:223], s[54:55], v[0:1]
	v_mul_f64 v[86:87], v[20:21], s[34:35]
	buffer_store_dword v148, off, s[68:71], 0 offset:772 ; 4-byte Folded Spill
	s_nop 0
	buffer_store_dword v149, off, s[68:71], 0 offset:776 ; 4-byte Folded Spill
	buffer_store_dword v152, off, s[68:71], 0 offset:804 ; 4-byte Folded Spill
	s_nop 0
	buffer_store_dword v153, off, s[68:71], 0 offset:808 ; 4-byte Folded Spill
	v_mul_f64 v[152:153], v[64:65], s[26:27]
	buffer_store_dword v175, off, s[68:71], 0 offset:780 ; 4-byte Folded Spill
	s_nop 0
	buffer_store_dword v176, off, s[68:71], 0 offset:784 ; 4-byte Folded Spill
	v_add_f64 v[2:3], v[58:59], v[2:3]
	v_fma_f64 v[6:7], v[224:225], s[24:25], v[4:5]
	v_fma_f64 v[4:5], v[224:225], s[62:63], v[4:5]
	v_add_f64 v[0:1], v[58:59], v[0:1]
	v_mul_f64 v[174:175], v[26:27], s[50:51]
	buffer_store_dword v177, off, s[68:71], 0 offset:788 ; 4-byte Folded Spill
	s_nop 0
	buffer_store_dword v178, off, s[68:71], 0 offset:792 ; 4-byte Folded Spill
	v_mul_f64 v[176:177], v[198:199], s[18:19]
	buffer_store_dword v179, off, s[68:71], 0 offset:820 ; 4-byte Folded Spill
	s_nop 0
	buffer_store_dword v180, off, s[68:71], 0 offset:824 ; 4-byte Folded Spill
	buffer_store_dword v181, off, s[68:71], 0 offset:836 ; 4-byte Folded Spill
	s_nop 0
	buffer_store_dword v182, off, s[68:71], 0 offset:840 ; 4-byte Folded Spill
	v_add_f64 v[2:3], v[6:7], v[2:3]
	v_mul_f64 v[6:7], v[212:213], s[22:23]
	v_add_f64 v[0:1], v[4:5], v[0:1]
	buffer_store_dword v183, off, s[68:71], 0 offset:852 ; 4-byte Folded Spill
	s_nop 0
	buffer_store_dword v184, off, s[68:71], 0 offset:856 ; 4-byte Folded Spill
	buffer_store_dword v185, off, s[68:71], 0 offset:860 ; 4-byte Folded Spill
	s_nop 0
	buffer_store_dword v186, off, s[68:71], 0 offset:864 ; 4-byte Folded Spill
	v_mul_f64 v[184:185], v[198:199], s[30:31]
	v_mul_f64 v[186:187], v[36:37], s[44:45]
	;; [unrolled: 1-line block ×3, first 2 shown]
	v_fma_f64 v[8:9], v[230:231], s[66:67], v[6:7]
	v_fma_f64 v[4:5], v[230:231], s[28:29], v[6:7]
	v_fma_f64 v[6:7], v[206:207], s[18:19], -v[78:79]
	v_add_f64 v[188:189], v[248:249], v[188:189]
	v_add_f64 v[2:3], v[8:9], v[2:3]
	v_mul_f64 v[8:9], v[216:217], s[30:31]
	v_add_f64 v[0:1], v[4:5], v[0:1]
	v_fma_f64 v[10:11], v[236:237], s[44:45], v[8:9]
	v_fma_f64 v[4:5], v[236:237], s[64:65], v[8:9]
	v_add_f64 v[2:3], v[10:11], v[2:3]
	v_mul_f64 v[10:11], v[252:253], s[14:15]
	v_add_f64 v[0:1], v[4:5], v[0:1]
	v_fma_f64 v[68:69], v[16:17], s[58:59], v[10:11]
	v_fma_f64 v[4:5], v[16:17], s[34:35], v[10:11]
	v_add_f64 v[2:3], v[68:69], v[2:3]
	v_fma_f64 v[68:69], v[22:23], s[48:49], v[72:73]
	v_add_f64 v[0:1], v[4:5], v[0:1]
	;; [unrolled: 2-line block ×6, first 2 shown]
	v_fma_f64 v[4:5], v[208:209], s[40:41], -v[76:77]
	v_add_f64 v[68:69], v[56:57], v[68:69]
	v_add_f64 v[4:5], v[56:57], v[4:5]
	v_add_f64 v[68:69], v[70:71], v[68:69]
	v_fma_f64 v[70:71], v[202:203], s[22:23], v[82:83]
	v_add_f64 v[4:5], v[6:7], v[4:5]
	v_fma_f64 v[6:7], v[202:203], s[22:23], -v[82:83]
	v_mul_f64 v[82:83], v[150:151], s[20:21]
	v_add_f64 v[68:69], v[70:71], v[68:69]
	v_fma_f64 v[70:71], v[214:215], s[30:31], v[84:85]
	v_add_f64 v[4:5], v[6:7], v[4:5]
	v_fma_f64 v[6:7], v[214:215], s[30:31], -v[84:85]
	v_mul_f64 v[84:85], v[194:195], s[42:43]
	v_add_f64 v[68:69], v[70:71], v[68:69]
	;; [unrolled: 5-line block ×5, first 2 shown]
	v_fma_f64 v[70:71], v[28:29], s[46:47], v[254:255]
	v_add_f64 v[4:5], v[6:7], v[4:5]
	v_fma_f64 v[6:7], v[28:29], s[52:53], v[254:255]
	v_mul_f64 v[254:255], v[20:21], s[66:67]
	v_add_f64 v[70:71], v[70:71], v[2:3]
	v_mul_f64 v[2:3], v[36:37], s[52:53]
	v_add_f64 v[74:75], v[6:7], v[0:1]
	v_mul_f64 v[0:1], v[210:211], s[30:31]
	v_fma_f64 v[148:149], v[196:197], s[38:39], v[2:3]
	v_fma_f64 v[2:3], v[196:197], s[38:39], -v[2:3]
	v_add_f64 v[68:69], v[148:149], v[68:69]
	v_add_f64 v[72:73], v[2:3], v[4:5]
	v_fma_f64 v[2:3], v[222:223], s[64:65], v[0:1]
	v_mul_f64 v[4:5], v[204:205], s[38:39]
	v_fma_f64 v[0:1], v[222:223], s[44:45], v[0:1]
	v_mul_f64 v[148:149], v[14:15], s[46:47]
	v_add_f64 v[2:3], v[58:59], v[2:3]
	v_fma_f64 v[6:7], v[224:225], s[52:53], v[4:5]
	v_fma_f64 v[4:5], v[224:225], s[46:47], v[4:5]
	v_add_f64 v[0:1], v[58:59], v[0:1]
	v_fma_f64 v[78:79], v[206:207], s[38:39], v[148:149]
	v_add_f64 v[2:3], v[6:7], v[2:3]
	v_mul_f64 v[6:7], v[212:213], s[14:15]
	v_add_f64 v[0:1], v[4:5], v[0:1]
	v_fma_f64 v[8:9], v[230:231], s[58:59], v[6:7]
	v_fma_f64 v[4:5], v[230:231], s[34:35], v[6:7]
	v_fma_f64 v[6:7], v[206:207], s[38:39], -v[148:149]
	v_mul_f64 v[148:149], v[150:151], s[22:23]
	v_add_f64 v[2:3], v[8:9], v[2:3]
	v_mul_f64 v[8:9], v[216:217], s[40:41]
	v_add_f64 v[0:1], v[4:5], v[0:1]
	v_fma_f64 v[10:11], v[236:237], s[56:57], v[8:9]
	v_fma_f64 v[4:5], v[236:237], s[54:55], v[8:9]
	v_add_f64 v[2:3], v[10:11], v[2:3]
	v_mul_f64 v[10:11], v[252:253], s[22:23]
	v_add_f64 v[0:1], v[4:5], v[0:1]
	v_fma_f64 v[76:77], v[16:17], s[28:29], v[10:11]
	v_fma_f64 v[4:5], v[16:17], s[66:67], v[10:11]
	v_mul_f64 v[10:11], v[204:205], s[40:41]
	v_add_f64 v[2:3], v[76:77], v[2:3]
	v_fma_f64 v[76:77], v[22:23], s[60:61], v[82:83]
	v_add_f64 v[0:1], v[4:5], v[0:1]
	v_fma_f64 v[4:5], v[22:23], s[26:27], v[82:83]
	v_mul_f64 v[82:83], v[212:213], s[20:21]
	v_add_f64 v[2:3], v[76:77], v[2:3]
	v_fma_f64 v[76:77], v[66:67], s[48:49], v[84:85]
	v_add_f64 v[0:1], v[4:5], v[0:1]
	;; [unrolled: 5-line block ×3, first 2 shown]
	v_fma_f64 v[4:5], v[208:209], s[30:31], -v[86:87]
	v_mul_f64 v[86:87], v[252:253], s[42:43]
	v_add_f64 v[76:77], v[56:57], v[76:77]
	v_add_f64 v[4:5], v[56:57], v[4:5]
	;; [unrolled: 1-line block ×3, first 2 shown]
	v_fma_f64 v[78:79], v[202:203], s[14:15], v[170:171]
	v_add_f64 v[4:5], v[6:7], v[4:5]
	v_fma_f64 v[6:7], v[202:203], s[14:15], -v[170:171]
	v_mul_f64 v[170:171], v[12:13], s[52:53]
	v_add_f64 v[76:77], v[78:79], v[76:77]
	v_fma_f64 v[78:79], v[214:215], s[40:41], v[172:173]
	v_add_f64 v[4:5], v[6:7], v[4:5]
	v_fma_f64 v[6:7], v[214:215], s[40:41], -v[172:173]
	v_mul_f64 v[172:173], v[14:15], s[56:57]
	v_add_f64 v[76:77], v[78:79], v[76:77]
	v_fma_f64 v[78:79], v[250:251], s[22:23], v[254:255]
	v_add_f64 v[4:5], v[6:7], v[4:5]
	v_fma_f64 v[6:7], v[250:251], s[22:23], -v[254:255]
	v_add_f64 v[76:77], v[78:79], v[76:77]
	v_fma_f64 v[78:79], v[80:81], s[20:21], v[152:153]
	v_add_f64 v[4:5], v[6:7], v[4:5]
	v_fma_f64 v[6:7], v[80:81], s[20:21], -v[152:153]
	v_mul_f64 v[152:153], v[194:195], s[14:15]
	v_add_f64 v[76:77], v[78:79], v[76:77]
	v_fma_f64 v[78:79], v[154:155], s[42:43], v[174:175]
	v_add_f64 v[4:5], v[6:7], v[4:5]
	v_fma_f64 v[6:7], v[154:155], s[42:43], -v[174:175]
	v_fma_f64 v[174:175], v[206:207], s[40:41], v[172:173]
	v_add_f64 v[76:77], v[78:79], v[76:77]
	v_fma_f64 v[78:79], v[28:29], s[24:25], v[176:177]
	v_add_f64 v[4:5], v[6:7], v[4:5]
	v_fma_f64 v[6:7], v[28:29], s[62:63], v[176:177]
	v_add_f64 v[78:79], v[78:79], v[2:3]
	v_mul_f64 v[2:3], v[36:37], s[62:63]
	v_mul_f64 v[36:37], v[36:37], s[60:61]
	v_fma_f64 v[8:9], v[196:197], s[18:19], -v[2:3]
	v_fma_f64 v[178:179], v[196:197], s[18:19], v[2:3]
	v_add_f64 v[2:3], v[6:7], v[0:1]
	v_fma_f64 v[6:7], v[224:225], s[54:55], v[10:11]
	v_fma_f64 v[10:11], v[224:225], s[56:57], v[10:11]
	v_add_f64 v[0:1], v[8:9], v[4:5]
	v_mul_f64 v[8:9], v[210:211], s[38:39]
	v_add_f64 v[76:77], v[178:179], v[76:77]
	v_fma_f64 v[4:5], v[222:223], s[46:47], v[8:9]
	v_fma_f64 v[8:9], v[222:223], s[52:53], v[8:9]
	v_add_f64 v[4:5], v[58:59], v[4:5]
	v_add_f64 v[8:9], v[58:59], v[8:9]
	v_add_f64 v[4:5], v[6:7], v[4:5]
	v_fma_f64 v[6:7], v[230:231], s[26:27], v[82:83]
	v_add_f64 v[8:9], v[10:11], v[8:9]
	v_fma_f64 v[10:11], v[230:231], s[60:61], v[82:83]
	v_fma_f64 v[82:83], v[206:207], s[40:41], -v[172:173]
	v_add_f64 v[4:5], v[6:7], v[4:5]
	v_fma_f64 v[6:7], v[236:237], s[62:63], v[84:85]
	v_add_f64 v[8:9], v[10:11], v[8:9]
	v_fma_f64 v[10:11], v[236:237], s[24:25], v[84:85]
	v_fma_f64 v[84:85], v[196:197], s[30:31], -v[186:187]
	v_add_f64 v[4:5], v[6:7], v[4:5]
	v_fma_f64 v[6:7], v[16:17], s[48:49], v[86:87]
	v_add_f64 v[8:9], v[10:11], v[8:9]
	v_fma_f64 v[10:11], v[16:17], s[50:51], v[86:87]
	v_mul_f64 v[86:87], v[204:205], s[42:43]
	v_add_f64 v[4:5], v[6:7], v[4:5]
	v_fma_f64 v[6:7], v[22:23], s[28:29], v[148:149]
	v_add_f64 v[8:9], v[10:11], v[8:9]
	v_fma_f64 v[10:11], v[22:23], s[66:67], v[148:149]
	v_fma_f64 v[148:149], v[224:225], s[48:49], v[86:87]
	;; [unrolled: 1-line block ×3, first 2 shown]
	v_add_f64 v[4:5], v[6:7], v[4:5]
	v_fma_f64 v[6:7], v[66:67], s[58:59], v[152:153]
	v_add_f64 v[8:9], v[10:11], v[8:9]
	v_fma_f64 v[10:11], v[66:67], s[34:35], v[152:153]
	;; [unrolled: 2-line block ×3, first 2 shown]
	v_add_f64 v[8:9], v[10:11], v[8:9]
	v_fma_f64 v[10:11], v[208:209], s[38:39], -v[170:171]
	v_add_f64 v[6:7], v[56:57], v[6:7]
	v_add_f64 v[10:11], v[56:57], v[10:11]
	;; [unrolled: 1-line block ×3, first 2 shown]
	v_mul_f64 v[174:175], v[242:243], s[60:61]
	v_add_f64 v[10:11], v[82:83], v[10:11]
	v_fma_f64 v[176:177], v[202:203], s[20:21], v[174:175]
	v_fma_f64 v[82:83], v[202:203], s[20:21], -v[174:175]
	v_add_f64 v[6:7], v[176:177], v[6:7]
	v_mul_f64 v[176:177], v[246:247], s[24:25]
	v_add_f64 v[10:11], v[82:83], v[10:11]
	v_fma_f64 v[178:179], v[214:215], s[18:19], v[176:177]
	v_fma_f64 v[82:83], v[214:215], s[18:19], -v[176:177]
	v_add_f64 v[6:7], v[178:179], v[6:7]
	v_mul_f64 v[178:179], v[20:21], s[50:51]
	v_add_f64 v[10:11], v[82:83], v[10:11]
	v_mul_f64 v[20:21], v[20:21], s[24:25]
	v_fma_f64 v[254:255], v[250:251], s[42:43], v[178:179]
	v_fma_f64 v[82:83], v[250:251], s[42:43], -v[178:179]
	v_mul_f64 v[178:179], v[14:15], s[50:51]
	v_add_f64 v[6:7], v[254:255], v[6:7]
	v_mul_f64 v[254:255], v[64:65], s[66:67]
	v_add_f64 v[10:11], v[82:83], v[10:11]
	v_fma_f64 v[14:15], v[206:207], s[42:43], v[178:179]
	v_mul_f64 v[64:65], v[64:65], s[54:55]
	v_fma_f64 v[180:181], v[80:81], s[22:23], v[254:255]
	v_fma_f64 v[82:83], v[80:81], s[22:23], -v[254:255]
	buffer_load_dword v254, off, s[68:71], 0 offset:244 ; 4-byte Folded Reload
	v_add_f64 v[6:7], v[180:181], v[6:7]
	v_mul_f64 v[180:181], v[26:27], s[34:35]
	v_add_f64 v[10:11], v[82:83], v[10:11]
	v_mul_f64 v[26:27], v[26:27], s[64:65]
	v_fma_f64 v[82:83], v[154:155], s[14:15], -v[180:181]
	v_fma_f64 v[182:183], v[154:155], s[14:15], v[180:181]
	v_mul_f64 v[180:181], v[242:243], s[46:47]
	v_add_f64 v[82:83], v[82:83], v[10:11]
	v_fma_f64 v[10:11], v[28:29], s[44:45], v[184:185]
	v_add_f64 v[182:183], v[182:183], v[6:7]
	v_fma_f64 v[6:7], v[28:29], s[64:65], v[184:185]
	v_mul_f64 v[184:185], v[198:199], s[20:21]
	v_add_f64 v[10:11], v[10:11], v[8:9]
	v_add_f64 v[8:9], v[84:85], v[82:83]
	v_mul_f64 v[82:83], v[210:211], s[22:23]
	v_add_f64 v[6:7], v[6:7], v[4:5]
	v_fma_f64 v[4:5], v[196:197], s[30:31], v[186:187]
	v_fma_f64 v[84:85], v[222:223], s[66:67], v[82:83]
	;; [unrolled: 1-line block ×3, first 2 shown]
	v_add_f64 v[4:5], v[4:5], v[182:183]
	v_mul_f64 v[182:183], v[246:247], s[58:59]
	v_add_f64 v[84:85], v[58:59], v[84:85]
	v_add_f64 v[82:83], v[58:59], v[82:83]
	;; [unrolled: 1-line block ×3, first 2 shown]
	v_mul_f64 v[148:149], v[212:213], s[38:39]
	v_add_f64 v[82:83], v[86:87], v[82:83]
	v_fma_f64 v[152:153], v[230:231], s[52:53], v[148:149]
	v_add_f64 v[84:85], v[152:153], v[84:85]
	v_mul_f64 v[152:153], v[216:217], s[14:15]
	v_fma_f64 v[170:171], v[236:237], s[34:35], v[152:153]
	v_fma_f64 v[86:87], v[236:237], s[58:59], v[152:153]
	v_mul_f64 v[152:153], v[216:217], s[42:43]
	v_add_f64 v[84:85], v[170:171], v[84:85]
	v_mul_f64 v[170:171], v[252:253], s[18:19]
	v_add_f64 v[62:63], v[62:63], v[152:153]
	v_mul_f64 v[152:153], v[154:155], s[40:41]
	v_fma_f64 v[172:173], v[16:17], s[62:63], v[170:171]
	v_fma_f64 v[16:17], v[16:17], s[24:25], v[170:171]
	v_add_f64 v[84:85], v[172:173], v[84:85]
	v_mul_f64 v[172:173], v[150:151], s[40:41]
	v_fma_f64 v[174:175], v[22:23], s[56:57], v[172:173]
	v_fma_f64 v[22:23], v[22:23], s[54:55], v[172:173]
	;; [unrolled: 4-line block ×3, first 2 shown]
	v_add_f64 v[84:85], v[176:177], v[84:85]
	v_mul_f64 v[176:177], v[12:13], s[28:29]
	v_fma_f64 v[12:13], v[208:209], s[22:23], v[176:177]
	v_add_f64 v[12:13], v[56:57], v[12:13]
	v_add_f64 v[12:13], v[14:15], v[12:13]
	v_fma_f64 v[14:15], v[202:203], s[38:39], v[180:181]
	v_add_f64 v[12:13], v[14:15], v[12:13]
	v_fma_f64 v[14:15], v[214:215], s[14:15], v[182:183]
	;; [unrolled: 2-line block ×3, first 2 shown]
	v_fma_f64 v[20:21], v[250:251], s[18:19], -v[20:21]
	v_add_f64 v[12:13], v[14:15], v[12:13]
	v_fma_f64 v[14:15], v[80:81], s[40:41], v[64:65]
	v_add_f64 v[12:13], v[14:15], v[12:13]
	v_fma_f64 v[14:15], v[154:155], s[30:31], v[26:27]
	v_fma_f64 v[26:27], v[154:155], s[30:31], -v[26:27]
	v_add_f64 v[12:13], v[14:15], v[12:13]
	v_fma_f64 v[14:15], v[28:29], s[26:27], v[184:185]
	v_add_f64 v[14:15], v[14:15], v[84:85]
	v_fma_f64 v[84:85], v[196:197], s[20:21], v[36:37]
	;; [unrolled: 2-line block ×3, first 2 shown]
	v_mul_f64 v[148:149], v[214:215], s[42:43]
	v_add_f64 v[82:83], v[84:85], v[82:83]
	v_mul_f64 v[84:85], v[216:217], s[22:23]
	v_add_f64 v[82:83], v[86:87], v[82:83]
	v_add_f64 v[16:17], v[16:17], v[82:83]
	buffer_load_dword v82, off, s[68:71], 0 offset:508 ; 4-byte Folded Reload
	buffer_load_dword v83, off, s[68:71], 0 offset:512 ; 4-byte Folded Reload
	;; [unrolled: 1-line block ×10, first 2 shown]
	v_add_f64 v[16:17], v[22:23], v[16:17]
	v_fma_f64 v[22:23], v[28:29], s[60:61], v[184:185]
	v_fma_f64 v[28:29], v[208:209], s[22:23], -v[176:177]
	v_mul_f64 v[176:177], v[252:253], s[40:41]
	v_add_f64 v[16:17], v[66:67], v[16:17]
	v_fma_f64 v[66:67], v[206:207], s[42:43], -v[178:179]
	v_add_f64 v[28:29], v[56:57], v[28:29]
	v_add_f64 v[60:61], v[60:61], v[176:177]
	v_mul_f64 v[178:179], v[250:251], s[20:21]
	v_mul_f64 v[176:177], v[196:197], s[42:43]
	v_add_f64 v[22:23], v[22:23], v[16:17]
	v_mul_f64 v[16:17], v[150:151], s[14:15]
	v_add_f64 v[28:29], v[66:67], v[28:29]
	v_fma_f64 v[66:67], v[202:203], s[38:39], -v[180:181]
	buffer_load_dword v180, off, s[68:71], 0 offset:468 ; 4-byte Folded Reload
	buffer_load_dword v181, off, s[68:71], 0 offset:472 ; 4-byte Folded Reload
	v_add_f64 v[178:179], v[178:179], -v[240:241]
	v_add_f64 v[16:17], v[49:50], v[16:17]
	v_mul_f64 v[49:50], v[204:205], s[22:23]
	v_add_f64 v[28:29], v[66:67], v[28:29]
	v_fma_f64 v[66:67], v[214:215], s[14:15], -v[182:183]
	buffer_load_dword v182, off, s[68:71], 0 offset:460 ; 4-byte Folded Reload
	buffer_load_dword v183, off, s[68:71], 0 offset:464 ; 4-byte Folded Reload
	;; [unrolled: 1-line block ×8, first 2 shown]
	v_add_f64 v[28:29], v[66:67], v[28:29]
	v_mul_f64 v[66:67], v[202:203], s[30:31]
	v_add_f64 v[20:21], v[20:21], v[28:29]
	v_fma_f64 v[28:29], v[80:81], s[40:41], -v[64:65]
	v_mul_f64 v[64:65], v[212:213], s[18:19]
	v_add_f64 v[20:21], v[28:29], v[20:21]
	v_mul_f64 v[28:29], v[210:211], s[18:19]
	v_add_f64 v[20:21], v[26:27], v[20:21]
	v_fma_f64 v[26:27], v[196:197], s[20:21], -v[36:37]
	v_add_f64 v[28:29], v[40:41], v[28:29]
	v_mul_f64 v[36:37], v[204:205], s[30:31]
	v_mul_f64 v[40:41], v[208:209], s[18:19]
	v_add_f64 v[20:21], v[26:27], v[20:21]
	v_mul_f64 v[26:27], v[212:213], s[42:43]
	v_add_f64 v[36:37], v[42:43], v[36:37]
	v_add_f64 v[28:29], v[58:59], v[28:29]
	v_add_f64 v[34:35], v[40:41], -v[34:35]
	v_mul_f64 v[40:41], v[206:207], s[30:31]
	s_waitcnt vmcnt(14)
	v_add_f64 v[49:50], v[170:171], v[49:50]
	v_add_f64 v[86:87], v[56:57], v[86:87]
	v_mul_f64 v[42:43], v[208:209], s[20:21]
	v_add_f64 v[26:27], v[46:47], v[26:27]
	v_mul_f64 v[46:47], v[206:207], s[22:23]
	v_add_f64 v[28:29], v[36:37], v[28:29]
	v_add_f64 v[34:35], v[56:57], v[34:35]
	v_add_f64 v[30:31], v[40:41], -v[30:31]
	v_mul_f64 v[36:37], v[216:217], s[38:39]
	s_waitcnt vmcnt(10)
	v_add_f64 v[86:87], v[86:87], v[174:175]
	v_mul_f64 v[40:41], v[208:209], s[14:15]
	v_mul_f64 v[170:171], v[250:251], s[38:39]
	;; [unrolled: 1-line block ×3, first 2 shown]
	v_add_f64 v[26:27], v[26:27], v[28:29]
	v_mul_f64 v[28:29], v[252:253], s[20:21]
	v_add_f64 v[30:31], v[30:31], v[34:35]
	v_add_f64 v[36:37], v[44:45], v[36:37]
	v_mul_f64 v[44:45], v[210:211], s[20:21]
	v_mul_f64 v[34:35], v[206:207], s[20:21]
	v_add_f64 v[28:29], v[38:39], v[28:29]
	v_mul_f64 v[38:39], v[202:203], s[42:43]
	v_add_f64 v[26:27], v[36:37], v[26:27]
	v_add_f64 v[44:45], v[82:83], v[44:45]
	v_mul_f64 v[36:37], v[210:211], s[14:15]
	v_mul_f64 v[82:83], v[214:215], s[22:23]
	v_add_f64 v[32:33], v[38:39], -v[32:33]
	v_mul_f64 v[38:39], v[214:215], s[38:39]
	v_add_f64 v[44:45], v[58:59], v[44:45]
	v_add_f64 v[26:27], v[28:29], v[26:27]
	s_waitcnt vmcnt(6)
	v_add_f64 v[86:87], v[86:87], v[182:183]
	v_mul_f64 v[182:183], v[80:81], s[38:39]
	v_mul_f64 v[28:29], v[204:205], s[20:21]
	v_add_f64 v[30:31], v[32:33], v[30:31]
	v_add_f64 v[24:25], v[38:39], -v[24:25]
	v_mul_f64 v[38:39], v[212:213], s[30:31]
	v_add_f64 v[44:45], v[49:50], v[44:45]
	v_add_f64 v[16:17], v[16:17], v[26:27]
	v_mul_f64 v[49:50], v[80:81], s[30:31]
	v_mul_f64 v[80:81], v[80:81], s[14:15]
	s_waitcnt vmcnt(2)
	v_add_f64 v[86:87], v[86:87], v[186:187]
	v_mul_f64 v[186:187], v[194:195], s[18:19]
	v_add_f64 v[24:25], v[24:25], v[30:31]
	v_add_f64 v[18:19], v[18:19], v[38:39]
	;; [unrolled: 1-line block ×3, first 2 shown]
	buffer_load_dword v192, off, s[68:71], 0 offset:332 ; 4-byte Folded Reload
	buffer_load_dword v193, off, s[68:71], 0 offset:336 ; 4-byte Folded Reload
	buffer_load_dword v30, off, s[68:71], 0 offset:300 ; 4-byte Folded Reload
	buffer_load_dword v31, off, s[68:71], 0 offset:304 ; 4-byte Folded Reload
	v_add_f64 v[80:81], v[80:81], -v[228:229]
	v_mul_f64 v[32:33], v[202:203], s[18:19]
	v_add_f64 v[16:17], v[188:189], v[16:17]
	v_add_f64 v[24:25], v[178:179], v[24:25]
	;; [unrolled: 1-line block ×4, first 2 shown]
	v_mul_f64 v[172:173], v[252:253], s[38:39]
	v_mul_f64 v[44:45], v[194:195], s[40:41]
	;; [unrolled: 1-line block ×3, first 2 shown]
	v_add_f64 v[24:25], v[80:81], v[24:25]
	v_add_f64 v[18:19], v[62:63], v[18:19]
	;; [unrolled: 1-line block ×3, first 2 shown]
	v_mul_f64 v[180:181], v[150:151], s[30:31]
	v_mul_f64 v[150:151], v[150:151], s[38:39]
	;; [unrolled: 1-line block ×3, first 2 shown]
	v_add_f64 v[18:19], v[60:61], v[18:19]
	v_add_f64 v[38:39], v[38:39], v[184:185]
	v_mul_f64 v[184:185], v[154:155], s[18:19]
	v_add_f64 v[26:27], v[200:201], v[150:151]
	v_mul_f64 v[154:155], v[154:155], s[22:23]
	s_waitcnt vmcnt(4)
	v_add_f64 v[38:39], v[38:39], v[190:191]
	v_mul_f64 v[190:191], v[196:197], s[14:15]
	v_add_f64 v[18:19], v[26:27], v[18:19]
	v_mul_f64 v[196:197], v[198:199], s[40:41]
	v_add_f64 v[150:151], v[154:155], -v[226:227]
	v_add_f64 v[60:61], v[244:245], v[196:197]
	s_waitcnt vmcnt(2)
	v_add_f64 v[86:87], v[86:87], v[192:193]
	s_waitcnt vmcnt(0)
	v_add_f64 v[30:31], v[38:39], v[30:31]
	buffer_load_dword v38, off, s[68:71], 0 offset:292 ; 4-byte Folded Reload
	buffer_load_dword v39, off, s[68:71], 0 offset:296 ; 4-byte Folded Reload
	;; [unrolled: 1-line block ×4, first 2 shown]
	v_mul_f64 v[192:193], v[198:199], s[14:15]
	v_add_f64 v[51:52], v[51:52], v[192:193]
	s_waitcnt vmcnt(2)
	v_add_f64 v[38:39], v[86:87], v[38:39]
	s_waitcnt vmcnt(0)
	v_add_f64 v[26:27], v[30:31], v[26:27]
	buffer_load_dword v30, off, s[68:71], 0 offset:268 ; 4-byte Folded Reload
	buffer_load_dword v31, off, s[68:71], 0 offset:272 ; 4-byte Folded Reload
	;; [unrolled: 1-line block ×4, first 2 shown]
	v_add_f64 v[86:87], v[218:219], v[186:187]
	s_waitcnt vmcnt(2)
	v_add_f64 v[30:31], v[38:39], v[30:31]
	s_waitcnt vmcnt(0)
	v_add_f64 v[36:37], v[80:81], v[36:37]
	v_add_f64 v[80:81], v[86:87], v[18:19]
	buffer_load_dword v18, off, s[68:71], 0 offset:252 ; 4-byte Folded Reload
	buffer_load_dword v19, off, s[68:71], 0 offset:256 ; 4-byte Folded Reload
	v_add_f64 v[38:39], v[194:195], -v[238:239]
	v_add_f64 v[36:37], v[58:59], v[36:37]
	v_add_f64 v[58:59], v[150:151], v[24:25]
	s_waitcnt vmcnt(0)
	v_add_f64 v[18:19], v[26:27], v[18:19]
	buffer_load_dword v26, off, s[68:71], 0 offset:860 ; 4-byte Folded Reload
	buffer_load_dword v27, off, s[68:71], 0 offset:864 ; 4-byte Folded Reload
	s_waitcnt vmcnt(0)
	v_add_f64 v[26:27], v[30:31], v[26:27]
	buffer_load_dword v30, off, s[68:71], 0 offset:772 ; 4-byte Folded Reload
	buffer_load_dword v31, off, s[68:71], 0 offset:776 ; 4-byte Folded Reload
	s_waitcnt vmcnt(0)
	v_add_f64 v[30:31], v[40:41], -v[30:31]
	buffer_load_dword v40, off, s[68:71], 0 offset:308 ; 4-byte Folded Reload
	buffer_load_dword v41, off, s[68:71], 0 offset:312 ; 4-byte Folded Reload
	v_add_f64 v[30:31], v[56:57], v[30:31]
	s_waitcnt vmcnt(0)
	v_add_f64 v[40:41], v[42:43], -v[40:41]
	buffer_load_dword v42, off, s[68:71], 0 offset:356 ; 4-byte Folded Reload
	buffer_load_dword v43, off, s[68:71], 0 offset:360 ; 4-byte Folded Reload
	v_add_f64 v[40:41], v[56:57], v[40:41]
	s_waitcnt vmcnt(0)
	v_add_f64 v[42:43], v[46:47], -v[42:43]
	buffer_load_dword v46, off, s[68:71], 0 offset:316 ; 4-byte Folded Reload
	buffer_load_dword v47, off, s[68:71], 0 offset:320 ; 4-byte Folded Reload
	s_waitcnt vmcnt(0)
	v_add_f64 v[28:29], v[46:47], v[28:29]
	buffer_load_dword v46, off, s[68:71], 0 offset:804 ; 4-byte Folded Reload
	buffer_load_dword v47, off, s[68:71], 0 offset:808 ; 4-byte Folded Reload
	v_add_f64 v[28:29], v[28:29], v[36:37]
	s_waitcnt vmcnt(0)
	v_add_f64 v[34:35], v[34:35], -v[46:47]
	buffer_load_dword v46, off, s[68:71], 0 offset:852 ; 4-byte Folded Reload
	buffer_load_dword v47, off, s[68:71], 0 offset:856 ; 4-byte Folded Reload
	v_add_f64 v[30:31], v[34:35], v[30:31]
	v_add_f64 v[34:35], v[42:43], v[40:41]
	s_waitcnt vmcnt(0)
	v_add_f64 v[18:19], v[18:19], v[46:47]
	buffer_load_dword v46, off, s[68:71], 0 offset:836 ; 4-byte Folded Reload
	buffer_load_dword v47, off, s[68:71], 0 offset:840 ; 4-byte Folded Reload
	s_waitcnt vmcnt(0)
	v_add_f64 v[26:27], v[26:27], v[46:47]
	buffer_load_dword v46, off, s[68:71], 0 offset:580 ; 4-byte Folded Reload
	buffer_load_dword v47, off, s[68:71], 0 offset:584 ; 4-byte Folded Reload
	;; [unrolled: 1-line block ×6, first 2 shown]
	s_waitcnt vmcnt(4)
	v_add_f64 v[46:47], v[66:67], -v[46:47]
	s_waitcnt vmcnt(2)
	v_add_f64 v[56:57], v[56:57], v[64:65]
	s_waitcnt vmcnt(0)
	v_add_f64 v[32:33], v[32:33], -v[36:37]
	buffer_load_dword v36, off, s[68:71], 0 offset:820 ; 4-byte Folded Reload
	buffer_load_dword v37, off, s[68:71], 0 offset:824 ; 4-byte Folded Reload
	v_add_f64 v[28:29], v[56:57], v[28:29]
	v_add_f64 v[30:31], v[32:33], v[30:31]
	;; [unrolled: 1-line block ×3, first 2 shown]
	s_waitcnt vmcnt(0)
	v_add_f64 v[18:19], v[18:19], v[36:37]
	buffer_load_dword v36, off, s[68:71], 0 offset:788 ; 4-byte Folded Reload
	buffer_load_dword v37, off, s[68:71], 0 offset:792 ; 4-byte Folded Reload
	s_waitcnt vmcnt(0)
	v_add_f64 v[26:27], v[26:27], v[36:37]
	buffer_load_dword v36, off, s[68:71], 0 offset:596 ; 4-byte Folded Reload
	buffer_load_dword v37, off, s[68:71], 0 offset:600 ; 4-byte Folded Reload
	;; [unrolled: 1-line block ×8, first 2 shown]
	s_waitcnt vmcnt(6)
	v_add_f64 v[36:37], v[148:149], -v[36:37]
	s_waitcnt vmcnt(4)
	v_add_f64 v[40:41], v[40:41], v[84:85]
	s_waitcnt vmcnt(2)
	v_add_f64 v[42:43], v[82:83], -v[42:43]
	s_waitcnt vmcnt(0)
	v_add_f64 v[18:19], v[18:19], v[56:57]
	buffer_load_dword v56, off, s[68:71], 0 offset:732 ; 4-byte Folded Reload
	buffer_load_dword v57, off, s[68:71], 0 offset:736 ; 4-byte Folded Reload
	buffer_load_dword v34, off, s[68:71], 0 offset:588 ; 4-byte Folded Reload
	buffer_load_dword v35, off, s[68:71], 0 offset:592 ; 4-byte Folded Reload
	buffer_load_dword v46, off, s[68:71], 0 offset:524 ; 4-byte Folded Reload
	buffer_load_dword v47, off, s[68:71], 0 offset:528 ; 4-byte Folded Reload
	v_add_f64 v[32:33], v[36:37], v[32:33]
	v_add_f64 v[28:29], v[40:41], v[28:29]
	buffer_load_dword v40, off, s[68:71], 0 offset:516 ; 4-byte Folded Reload
	buffer_load_dword v41, off, s[68:71], 0 offset:520 ; 4-byte Folded Reload
	v_add_f64 v[30:31], v[42:43], v[30:31]
	s_waitcnt vmcnt(6)
	v_add_f64 v[26:27], v[26:27], v[56:57]
	buffer_load_dword v56, off, s[68:71], 0 offset:716 ; 4-byte Folded Reload
	buffer_load_dword v57, off, s[68:71], 0 offset:720 ; 4-byte Folded Reload
	s_waitcnt vmcnt(4)
	v_add_f64 v[46:47], v[46:47], v[172:173]
	v_add_f64 v[34:35], v[174:175], -v[34:35]
	s_waitcnt vmcnt(2)
	v_add_f64 v[40:41], v[170:171], -v[40:41]
	v_add_f64 v[28:29], v[46:47], v[28:29]
	v_add_f64 v[32:33], v[34:35], v[32:33]
	;; [unrolled: 1-line block ×3, first 2 shown]
	s_waitcnt vmcnt(0)
	v_add_f64 v[18:19], v[18:19], v[56:57]
	buffer_load_dword v56, off, s[68:71], 0 offset:740 ; 4-byte Folded Reload
	buffer_load_dword v57, off, s[68:71], 0 offset:744 ; 4-byte Folded Reload
	buffer_load_dword v36, off, s[68:71], 0 offset:620 ; 4-byte Folded Reload
	buffer_load_dword v37, off, s[68:71], 0 offset:624 ; 4-byte Folded Reload
	buffer_load_dword v42, off, s[68:71], 0 offset:540 ; 4-byte Folded Reload
	buffer_load_dword v43, off, s[68:71], 0 offset:544 ; 4-byte Folded Reload
	buffer_load_dword v170, off, s[68:71], 0 ; 4-byte Folded Reload
	buffer_load_dword v46, off, s[68:71], 0 offset:532 ; 4-byte Folded Reload
	buffer_load_dword v47, off, s[68:71], 0 offset:536 ; 4-byte Folded Reload
	s_waitcnt vmcnt(7)
	v_add_f64 v[26:27], v[26:27], v[56:57]
	s_waitcnt vmcnt(5)
	v_add_f64 v[36:37], v[182:183], -v[36:37]
	s_waitcnt vmcnt(3)
	v_add_f64 v[42:43], v[42:43], v[180:181]
	s_waitcnt vmcnt(0)
	v_add_f64 v[46:47], v[49:50], -v[46:47]
	buffer_load_dword v49, off, s[68:71], 0 offset:724 ; 4-byte Folded Reload
	buffer_load_dword v50, off, s[68:71], 0 offset:728 ; 4-byte Folded Reload
	v_add_f64 v[32:33], v[36:37], v[32:33]
	v_add_f64 v[28:29], v[42:43], v[28:29]
	;; [unrolled: 1-line block ×3, first 2 shown]
	s_waitcnt vmcnt(0)
	v_add_f64 v[18:19], v[18:19], v[49:50]
	buffer_load_dword v49, off, s[68:71], 0 offset:684 ; 4-byte Folded Reload
	buffer_load_dword v50, off, s[68:71], 0 offset:688 ; 4-byte Folded Reload
	;; [unrolled: 1-line block ×8, first 2 shown]
	s_waitcnt vmcnt(6)
	v_add_f64 v[26:27], v[26:27], v[49:50]
	s_waitcnt vmcnt(4)
	v_add_f64 v[34:35], v[184:185], -v[34:35]
	s_waitcnt vmcnt(2)
	v_add_f64 v[40:41], v[40:41], v[44:45]
	buffer_load_dword v44, off, s[68:71], 0 offset:708 ; 4-byte Folded Reload
	buffer_load_dword v45, off, s[68:71], 0 offset:712 ; 4-byte Folded Reload
	s_waitcnt vmcnt(2)
	v_add_f64 v[42:43], v[152:153], -v[42:43]
	v_add_f64 v[56:57], v[34:35], v[32:33]
	v_add_f64 v[28:29], v[40:41], v[28:29]
	;; [unrolled: 1-line block ×3, first 2 shown]
	s_waitcnt vmcnt(0)
	v_add_f64 v[18:19], v[18:19], v[44:45]
	buffer_load_dword v44, off, s[68:71], 0 offset:676 ; 4-byte Folded Reload
	buffer_load_dword v45, off, s[68:71], 0 offset:680 ; 4-byte Folded Reload
	;; [unrolled: 1-line block ×4, first 2 shown]
	s_waitcnt vmcnt(2)
	v_add_f64 v[26:27], v[26:27], v[44:45]
	buffer_load_dword v44, off, s[68:71], 0 offset:572 ; 4-byte Folded Reload
	buffer_load_dword v45, off, s[68:71], 0 offset:576 ; 4-byte Folded Reload
	;; [unrolled: 1-line block ×6, first 2 shown]
	s_waitcnt vmcnt(6)
	v_add_f64 v[36:37], v[190:191], -v[36:37]
	v_add_f64 v[24:25], v[36:37], v[56:57]
	v_lshrrev_b32_e32 v36, 1, v170
	v_mul_u32_u24_e32 v36, 34, v36
	s_waitcnt vmcnt(4)
	v_add_f64 v[44:45], v[44:45], v[62:63]
	s_waitcnt vmcnt(2)
	v_add_f64 v[40:41], v[176:177], -v[40:41]
	s_waitcnt vmcnt(0)
	v_add_f64 v[46:47], v[18:19], v[46:47]
	buffer_load_dword v18, off, s[68:71], 0 offset:652 ; 4-byte Folded Reload
	buffer_load_dword v19, off, s[68:71], 0 offset:656 ; 4-byte Folded Reload
	v_add_f64 v[30:31], v[44:45], v[28:29]
	v_add_f64 v[28:29], v[40:41], v[42:43]
	s_waitcnt vmcnt(0)
	v_add_f64 v[49:50], v[26:27], v[18:19]
	v_add_f64 v[18:19], v[60:61], v[16:17]
	buffer_load_dword v16, off, s[68:71], 0 offset:636 ; 4-byte Folded Reload
	buffer_load_dword v17, off, s[68:71], 0 offset:640 ; 4-byte Folded Reload
	v_add_f64 v[26:27], v[51:52], v[80:81]
	s_waitcnt vmcnt(0)
	v_add_f64 v[34:35], v[46:47], v[16:17]
	buffer_load_dword v16, off, s[68:71], 0 offset:628 ; 4-byte Folded Reload
	buffer_load_dword v17, off, s[68:71], 0 offset:632 ; 4-byte Folded Reload
	;; [unrolled: 1-line block ×3, first 2 shown]
	s_waitcnt vmcnt(1)
	v_add_f64 v[32:33], v[49:50], v[16:17]
	v_add_f64 v[16:17], v[38:39], v[58:59]
	s_waitcnt vmcnt(0)
	v_or_b32_e32 v36, v36, v37
	v_lshl_add_u32 v36, v36, 4, v254
	ds_write_b128 v36, v[32:35]
	ds_write_b128 v36, v[28:31] offset:32
	ds_write_b128 v36, v[24:27] offset:64
	;; [unrolled: 1-line block ×7, first 2 shown]
	buffer_load_dword v0, off, s[68:71], 0 offset:692 ; 4-byte Folded Reload
	buffer_load_dword v1, off, s[68:71], 0 offset:696 ; 4-byte Folded Reload
	;; [unrolled: 1-line block ×4, first 2 shown]
	s_waitcnt vmcnt(0)
	ds_write_b128 v36, v[0:3] offset:256
	buffer_load_dword v0, off, s[68:71], 0 offset:604 ; 4-byte Folded Reload
	buffer_load_dword v1, off, s[68:71], 0 offset:608 ; 4-byte Folded Reload
	;; [unrolled: 1-line block ×4, first 2 shown]
	s_waitcnt vmcnt(0)
	ds_write_b128 v36, v[0:3] offset:288
	ds_write_b128 v36, v[68:71] offset:320
	;; [unrolled: 1-line block ×8, first 2 shown]
.LBB0_11:
	s_or_b64 exec, exec, s[36:37]
	s_waitcnt vmcnt(0) lgkmcnt(0)
	s_barrier
	ds_read_b128 v[148:151], v48
	ds_read_b128 v[20:23], v48 offset:1088
	ds_read_b128 v[44:47], v48 offset:9248
	;; [unrolled: 1-line block ×13, first 2 shown]
	v_lshlrev_b32_e32 v49, 1, v170
	s_and_saveexec_b64 s[14:15], s[0:1]
	s_cbranch_execz .LBB0_13
; %bb.12:
	ds_read_b128 v[88:91], v48 offset:7616
	ds_read_b128 v[96:99], v48 offset:15776
.LBB0_13:
	s_or_b64 exec, exec, s[14:15]
	s_movk_i32 s14, 0xffde
	v_add_co_u32_e32 v50, vcc, s14, v170
	v_addc_co_u32_e64 v51, s[14:15], 0, -1, vcc
	v_cndmask_b32_e64 v51, v51, 0, s[0:1]
	v_cndmask_b32_e64 v50, v50, v170, s[0:1]
	v_lshlrev_b64 v[51:52], 4, v[50:51]
	v_mov_b32_e32 v60, s5
	v_add_co_u32_e32 v51, vcc, s4, v51
	v_addc_co_u32_e32 v52, vcc, v60, v52, vcc
	global_load_dwordx4 v[60:63], v[51:52], off offset:512
	s_movk_i32 s14, 0xf1
	v_mov_b32_e32 v191, v170
	v_cmp_lt_u16_e32 vcc, 33, v191
	s_waitcnt vmcnt(0) lgkmcnt(3)
	v_mul_f64 v[51:52], v[58:59], v[62:63]
	v_fma_f64 v[51:52], v[56:57], v[60:61], -v[51:52]
	v_mul_f64 v[56:57], v[56:57], v[62:63]
	buffer_store_dword v60, off, s[68:71], 0 offset:252 ; 4-byte Folded Spill
	s_nop 0
	buffer_store_dword v61, off, s[68:71], 0 offset:256 ; 4-byte Folded Spill
	buffer_store_dword v62, off, s[68:71], 0 offset:260 ; 4-byte Folded Spill
	;; [unrolled: 1-line block ×3, first 2 shown]
	v_fma_f64 v[56:57], v[58:59], v[60:61], v[56:57]
	v_mul_lo_u16_sdwa v58, v221, s14 dst_sel:DWORD dst_unused:UNUSED_PAD src0_sel:BYTE_0 src1_sel:DWORD
	v_lshrrev_b16_e32 v181, 13, v58
	v_mul_lo_u16_e32 v58, 34, v181
	v_sub_u16_e32 v182, v221, v58
	v_mov_b32_e32 v60, 4
	v_lshlrev_b32_sdwa v58, v60, v182 dst_sel:DWORD dst_unused:UNUSED_PAD src0_sel:DWORD src1_sel:BYTE_0
	global_load_dwordx4 v[61:64], v58, s[4:5] offset:512
	s_waitcnt vmcnt(0)
	v_mul_f64 v[58:59], v[46:47], v[63:64]
	v_fma_f64 v[58:59], v[44:45], v[61:62], -v[58:59]
	v_mul_f64 v[44:45], v[44:45], v[63:64]
	buffer_store_dword v61, off, s[68:71], 0 offset:268 ; 4-byte Folded Spill
	s_nop 0
	buffer_store_dword v62, off, s[68:71], 0 offset:272 ; 4-byte Folded Spill
	buffer_store_dword v63, off, s[68:71], 0 offset:276 ; 4-byte Folded Spill
	;; [unrolled: 1-line block ×3, first 2 shown]
	v_fma_f64 v[44:45], v[46:47], v[61:62], v[44:45]
	v_mul_lo_u16_sdwa v46, v220, s14 dst_sel:DWORD dst_unused:UNUSED_PAD src0_sel:BYTE_0 src1_sel:DWORD
	v_lshrrev_b16_e32 v183, 13, v46
	v_mul_lo_u16_e32 v46, 34, v183
	v_sub_u16_e32 v184, v220, v46
	v_lshlrev_b32_sdwa v46, v60, v184 dst_sel:DWORD dst_unused:UNUSED_PAD src0_sel:DWORD src1_sel:BYTE_0
	global_load_dwordx4 v[68:71], v46, s[4:5] offset:512
	s_mov_b32 s14, 0xf0f1
	s_waitcnt vmcnt(0)
	v_mul_f64 v[46:47], v[42:43], v[70:71]
	v_fma_f64 v[46:47], v[40:41], v[68:69], -v[46:47]
	v_mul_f64 v[40:41], v[40:41], v[70:71]
	v_fma_f64 v[60:61], v[42:43], v[68:69], v[40:41]
	v_mul_u32_u24_sdwa v40, v53, s14 dst_sel:DWORD dst_unused:UNUSED_PAD src0_sel:WORD_0 src1_sel:DWORD
	v_lshrrev_b32_e32 v185, 21, v40
	v_mul_lo_u16_e32 v41, 34, v185
	v_sub_u16_e32 v186, v53, v41
	v_lshlrev_b32_e32 v41, 4, v186
	global_load_dwordx4 v[72:75], v41, s[4:5] offset:512
	s_waitcnt vmcnt(0)
	v_mul_f64 v[41:42], v[38:39], v[74:75]
	v_fma_f64 v[62:63], v[36:37], v[72:73], -v[41:42]
	v_mul_f64 v[36:37], v[36:37], v[74:75]
	v_fma_f64 v[37:38], v[38:39], v[72:73], v[36:37]
	v_mul_u32_u24_sdwa v36, v55, s14 dst_sel:DWORD dst_unused:UNUSED_PAD src0_sel:WORD_0 src1_sel:DWORD
	v_lshrrev_b32_e32 v39, 21, v36
	v_mul_lo_u16_e32 v41, 34, v39
	v_sub_u16_e32 v187, v55, v41
	v_lshlrev_b32_e32 v41, 4, v187
	global_load_dwordx4 v[76:79], v41, s[4:5] offset:512
	s_waitcnt vmcnt(0)
	v_mul_f64 v[41:42], v[34:35], v[78:79]
	v_fma_f64 v[152:153], v[32:33], v[76:77], -v[41:42]
	v_mul_f64 v[32:33], v[32:33], v[78:79]
	v_add_f64 v[41:42], v[16:17], -v[46:47]
	v_fma_f64 v[154:155], v[34:35], v[76:77], v[32:33]
	v_mul_u32_u24_sdwa v32, v169, s14 dst_sel:DWORD dst_unused:UNUSED_PAD src0_sel:WORD_0 src1_sel:DWORD
	v_lshrrev_b32_e32 v188, 21, v32
	v_mul_lo_u16_e32 v32, 34, v188
	v_sub_u16_e32 v189, v169, v32
	v_lshlrev_b32_e32 v32, 4, v189
	global_load_dwordx4 v[80:83], v32, s[4:5] offset:512
	v_add_f64 v[34:35], v[22:23], -v[44:45]
	v_add_f64 v[43:44], v[18:19], -v[60:61]
	v_fma_f64 v[16:17], v[16:17], 2.0, -v[41:42]
	v_fma_f64 v[22:23], v[22:23], 2.0, -v[34:35]
	;; [unrolled: 1-line block ×3, first 2 shown]
	s_waitcnt vmcnt(0) lgkmcnt(1)
	v_mul_f64 v[32:33], v[30:31], v[82:83]
	v_fma_f64 v[169:170], v[28:29], v[80:81], -v[32:33]
	v_mul_f64 v[28:29], v[28:29], v[82:83]
	v_add_f64 v[32:33], v[20:21], -v[58:59]
	v_add_f64 v[58:59], v[14:15], -v[37:38]
	v_mov_b32_e32 v37, 0x44
	v_cndmask_b32_e32 v37, 0, v37, vcc
	v_add_u32_e32 v37, v50, v37
	v_lshl_add_u32 v37, v37, 4, v254
	v_fma_f64 v[171:172], v[30:31], v[80:81], v[28:29]
	v_mul_u32_u24_sdwa v28, v168, s14 dst_sel:DWORD dst_unused:UNUSED_PAD src0_sel:WORD_0 src1_sel:DWORD
	v_lshrrev_b32_e32 v190, 21, v28
	v_mul_lo_u16_e32 v28, 34, v190
	v_sub_u16_e32 v168, v168, v28
	v_lshlrev_b32_e32 v28, 4, v168
	global_load_dwordx4 v[84:87], v28, s[4:5] offset:512
	v_fma_f64 v[20:21], v[20:21], 2.0, -v[32:33]
	v_fma_f64 v[14:15], v[14:15], 2.0, -v[58:59]
	s_waitcnt vmcnt(0) lgkmcnt(0)
	v_mul_f64 v[28:29], v[26:27], v[86:87]
	v_fma_f64 v[173:174], v[24:25], v[84:85], -v[28:29]
	v_mul_f64 v[24:25], v[24:25], v[86:87]
	v_fma_f64 v[175:176], v[26:27], v[84:85], v[24:25]
	v_mul_u32_u24_sdwa v24, v54, s14 dst_sel:DWORD dst_unused:UNUSED_PAD src0_sel:WORD_0 src1_sel:DWORD
	v_lshrrev_b32_e32 v24, 21, v24
	v_mul_lo_u16_e32 v24, 34, v24
	v_sub_u16_e32 v54, v54, v24
	v_lshlrev_b32_e32 v24, 4, v54
	global_load_dwordx4 v[26:29], v24, s[4:5] offset:512
	s_movk_i32 s14, 0x44
	s_waitcnt vmcnt(0)
	v_mul_f64 v[24:25], v[98:99], v[28:29]
	v_fma_f64 v[177:178], v[96:97], v[26:27], -v[24:25]
	v_mul_f64 v[24:25], v[96:97], v[28:29]
	buffer_store_dword v26, off, s[68:71], 0 offset:428 ; 4-byte Folded Spill
	s_nop 0
	buffer_store_dword v27, off, s[68:71], 0 offset:432 ; 4-byte Folded Spill
	buffer_store_dword v28, off, s[68:71], 0 offset:436 ; 4-byte Folded Spill
	;; [unrolled: 1-line block ×3, first 2 shown]
	v_add_f64 v[96:97], v[8:9], -v[152:153]
	v_add_f64 v[152:153], v[0:1], -v[173:174]
	s_waitcnt vmcnt(0)
	s_barrier
	v_add_f64 v[236:237], v[88:89], -v[177:178]
	buffer_store_dword v37, off, s[68:71], 0 offset:292 ; 4-byte Folded Spill
	v_fma_f64 v[8:9], v[8:9], 2.0, -v[96:97]
	v_fma_f64 v[0:1], v[0:1], 2.0, -v[152:153]
	v_fma_f64 v[179:180], v[98:99], v[26:27], v[24:25]
	v_add_f64 v[24:25], v[148:149], -v[51:52]
	v_add_f64 v[26:27], v[150:151], -v[56:57]
	;; [unrolled: 1-line block ×6, first 2 shown]
	v_fma_f64 v[28:29], v[148:149], 2.0, -v[24:25]
	v_fma_f64 v[30:31], v[150:151], 2.0, -v[26:27]
	v_add_f64 v[148:149], v[4:5], -v[169:170]
	v_add_f64 v[150:151], v[6:7], -v[171:172]
	v_fma_f64 v[12:13], v[12:13], 2.0, -v[56:57]
	ds_write_b128 v37, v[24:27] offset:544
	v_mul_u32_u24_e32 v24, 0x44, v181
	v_add_u32_sdwa v24, v24, v182 dst_sel:DWORD dst_unused:UNUSED_PAD src0_sel:DWORD src1_sel:BYTE_0
	v_fma_f64 v[10:11], v[10:11], 2.0, -v[98:99]
	v_lshl_add_u32 v24, v24, 4, v254
	ds_write_b128 v37, v[28:31]
	ds_write_b128 v24, v[20:23]
	v_mul_u32_u24_e32 v20, 0x44, v183
	v_fma_f64 v[4:5], v[4:5], 2.0, -v[148:149]
	v_fma_f64 v[6:7], v[6:7], 2.0, -v[150:151]
	v_add_u32_sdwa v20, v20, v184 dst_sel:DWORD dst_unused:UNUSED_PAD src0_sel:DWORD src1_sel:BYTE_0
	v_lshl_add_u32 v20, v20, 4, v254
	v_fma_f64 v[2:3], v[2:3], 2.0, -v[154:155]
	ds_write_b128 v24, v[32:35] offset:544
	ds_write_b128 v20, v[16:19]
	v_mad_legacy_u16 v16, v185, s14, v186
	v_lshl_add_u32 v16, v16, 4, v254
	ds_write_b128 v20, v[41:44] offset:544
	ds_write_b128 v16, v[12:15]
	v_mad_legacy_u16 v12, v39, s14, v187
	v_lshl_add_u32 v12, v12, 4, v254
	;; [unrolled: 4-line block ×4, first 2 shown]
	ds_write_b128 v8, v[148:151] offset:544
	ds_write_b128 v4, v[0:3]
	v_lshl_add_u32 v0, v54, 4, v254
	buffer_store_dword v24, off, s[68:71], 0 offset:300 ; 4-byte Folded Spill
	buffer_store_dword v20, off, s[68:71], 0 offset:308 ; 4-byte Folded Spill
	;; [unrolled: 1-line block ×6, first 2 shown]
	ds_write_b128 v4, v[152:155] offset:544
	buffer_store_dword v0, off, s[68:71], 0 offset:284 ; 4-byte Folded Spill
	s_and_saveexec_b64 s[14:15], s[0:1]
	s_cbranch_execz .LBB0_15
; %bb.14:
	buffer_load_dword v4, off, s[68:71], 0 offset:284 ; 4-byte Folded Reload
	v_fma_f64 v[2:3], v[90:91], 2.0, -v[238:239]
	v_fma_f64 v[0:1], v[88:89], 2.0, -v[236:237]
	s_waitcnt vmcnt(0)
	ds_write_b128 v4, v[0:3] offset:15232
	ds_write_b128 v4, v[236:239] offset:15776
.LBB0_15:
	s_or_b64 exec, exec, s[14:15]
	v_mov_b32_e32 v0, s17
	v_lshlrev_b32_e32 v37, 4, v49
	v_addc_co_u32_e64 v59, vcc, 0, v0, s[6:7]
	s_waitcnt vmcnt(0) lgkmcnt(0)
	s_barrier
	ds_read_b128 v[12:15], v48
	ds_read_b128 v[16:19], v48 offset:5440
	ds_read_b128 v[20:23], v48 offset:10880
	;; [unrolled: 1-line block ×14, first 2 shown]
	global_load_dwordx4 v[88:91], v37, s[4:5] offset:1072
	global_load_dwordx4 v[96:99], v37, s[4:5] offset:1056
	s_movk_i32 s6, 0x79
	s_mov_b32 s15, 0xbfebb67a
	v_mov_b32_e32 v64, v254
	s_mov_b32 s17, 0xbfee6f0e
	s_mov_b32 s19, 0xbfe2cf23
	s_waitcnt vmcnt(0) lgkmcnt(13)
	v_mul_f64 v[37:38], v[18:19], v[98:99]
	v_fma_f64 v[37:38], v[16:17], v[96:97], -v[37:38]
	v_mul_f64 v[16:17], v[16:17], v[98:99]
	v_fma_f64 v[45:46], v[18:19], v[96:97], v[16:17]
	s_waitcnt lgkmcnt(12)
	v_mul_f64 v[16:17], v[22:23], v[90:91]
	v_fma_f64 v[49:50], v[20:21], v[88:89], -v[16:17]
	v_mul_f64 v[16:17], v[20:21], v[90:91]
	v_mov_b32_e32 v20, s5
	v_fma_f64 v[51:52], v[22:23], v[88:89], v[16:17]
	s_waitcnt lgkmcnt(10)
	v_mul_f64 v[16:17], v[26:27], v[98:99]
	v_add_f64 v[21:22], v[37:38], v[49:50]
	v_fma_f64 v[56:57], v[24:25], v[96:97], -v[16:17]
	v_mul_f64 v[16:17], v[24:25], v[98:99]
	v_fma_f64 v[21:22], v[21:22], -0.5, v[12:13]
	v_add_f64 v[23:24], v[45:46], -v[51:52]
	v_fma_f64 v[60:61], v[26:27], v[96:97], v[16:17]
	s_waitcnt lgkmcnt(9)
	v_mul_f64 v[16:17], v[30:31], v[90:91]
	v_add_f64 v[25:26], v[45:46], v[51:52]
	v_fma_f64 v[62:63], v[28:29], v[88:89], -v[16:17]
	v_mul_f64 v[16:17], v[28:29], v[90:91]
	v_add_f64 v[27:28], v[37:38], -v[49:50]
	v_fma_f64 v[25:26], v[25:26], -0.5, v[14:15]
	v_fma_f64 v[196:197], v[30:31], v[88:89], v[16:17]
	v_mul_lo_u16_sdwa v16, v220, s6 dst_sel:DWORD dst_unused:UNUSED_PAD src0_sel:BYTE_0 src1_sel:DWORD
	v_lshrrev_b16_e32 v16, 13, v16
	v_mul_lo_u16_e32 v16, 0x44, v16
	v_sub_u16_e32 v16, v220, v16
	v_and_b32_e32 v16, 0xff, v16
	v_lshlrev_b32_e32 v17, 5, v16
	global_load_dwordx4 v[148:151], v17, s[4:5] offset:1072
	global_load_dwordx4 v[152:155], v17, s[4:5] offset:1056
	v_add_f64 v[29:30], v[56:57], v[62:63]
	s_mov_b32 s6, 0xe8584caa
	s_mov_b32 s7, 0x3febb67a
	s_mov_b32 s14, s6
	v_fma_f64 v[29:30], v[29:30], -0.5, v[8:9]
	s_waitcnt vmcnt(0) lgkmcnt(7)
	v_mul_f64 v[17:18], v[34:35], v[154:155]
	v_fma_f64 v[198:199], v[32:33], v[152:153], -v[17:18]
	v_mul_f64 v[17:18], v[32:33], v[154:155]
	v_add_f64 v[31:32], v[60:61], -v[196:197]
	v_fma_f64 v[200:201], v[34:35], v[152:153], v[17:18]
	s_waitcnt lgkmcnt(6)
	v_mul_f64 v[17:18], v[43:44], v[150:151]
	v_add_f64 v[33:34], v[60:61], v[196:197]
	v_fma_f64 v[202:203], v[41:42], v[148:149], -v[17:18]
	v_mul_f64 v[17:18], v[41:42], v[150:151]
	v_fma_f64 v[33:34], v[33:34], -0.5, v[10:11]
	v_fma_f64 v[41:42], v[43:44], v[148:149], v[17:18]
	v_lshrrev_b32_e32 v17, 22, v40
	v_mul_lo_u16_e32 v17, 0x44, v17
	v_sub_u16_e32 v17, v53, v17
	v_lshlrev_b16_e32 v18, 5, v17
	v_add_co_u32_e32 v18, vcc, s4, v18
	v_addc_co_u32_e32 v19, vcc, 0, v20, vcc
	global_load_dwordx4 v[168:171], v[18:19], off offset:1072
	global_load_dwordx4 v[172:175], v[18:19], off offset:1056
	v_add_f64 v[39:40], v[200:201], -v[41:42]
	v_add_f64 v[43:44], v[198:199], -v[202:203]
	s_waitcnt vmcnt(0) lgkmcnt(4)
	v_mul_f64 v[18:19], v[178:179], v[174:175]
	v_fma_f64 v[53:54], v[176:177], v[172:173], -v[18:19]
	v_mul_f64 v[18:19], v[176:177], v[174:175]
	v_fma_f64 v[204:205], v[178:179], v[172:173], v[18:19]
	s_waitcnt lgkmcnt(3)
	v_mul_f64 v[18:19], v[182:183], v[170:171]
	v_fma_f64 v[206:207], v[180:181], v[168:169], -v[18:19]
	v_mul_f64 v[18:19], v[180:181], v[170:171]
	v_fma_f64 v[208:209], v[182:183], v[168:169], v[18:19]
	v_lshrrev_b32_e32 v18, 22, v36
	v_mul_lo_u16_e32 v18, 0x44, v18
	v_sub_u16_e32 v18, v55, v18
	v_lshlrev_b16_e32 v19, 5, v18
	v_add_co_u32_e32 v19, vcc, s4, v19
	v_addc_co_u32_e32 v20, vcc, 0, v20, vcc
	global_load_dwordx4 v[176:179], v[19:20], off offset:1072
	global_load_dwordx4 v[180:183], v[19:20], off offset:1056
	v_add_f64 v[35:36], v[56:57], -v[62:63]
	s_waitcnt vmcnt(0) lgkmcnt(0)
	s_barrier
	v_mul_f64 v[19:20], v[190:191], v[182:183]
	v_fma_f64 v[210:211], v[188:189], v[180:181], -v[19:20]
	v_mul_f64 v[19:20], v[188:189], v[182:183]
	v_fma_f64 v[190:191], v[190:191], v[180:181], v[19:20]
	v_mul_f64 v[19:20], v[194:195], v[178:179]
	v_fma_f64 v[212:213], v[192:193], v[176:177], -v[19:20]
	v_mul_f64 v[19:20], v[192:193], v[178:179]
	v_fma_f64 v[192:193], v[194:195], v[176:177], v[19:20]
	v_add_f64 v[19:20], v[12:13], v[37:38]
	v_add_f64 v[37:38], v[198:199], v[202:203]
	v_fma_f64 v[12:13], v[23:24], s[6:7], v[21:22]
	v_fma_f64 v[23:24], v[23:24], s[14:15], v[21:22]
	v_add_f64 v[21:22], v[14:15], v[45:46]
	v_fma_f64 v[14:15], v[27:28], s[14:15], v[25:26]
	v_fma_f64 v[25:26], v[27:28], s[6:7], v[25:26]
	v_add_f64 v[27:28], v[8:9], v[56:57]
	v_fma_f64 v[8:9], v[31:32], s[6:7], v[29:30]
	v_fma_f64 v[37:38], v[37:38], -0.5, v[4:5]
	v_fma_f64 v[31:32], v[31:32], s[14:15], v[29:30]
	v_add_f64 v[29:30], v[10:11], v[60:61]
	v_fma_f64 v[10:11], v[35:36], s[14:15], v[33:34]
	v_fma_f64 v[33:34], v[35:36], s[6:7], v[33:34]
	v_add_f64 v[35:36], v[4:5], v[198:199]
	v_add_f64 v[21:22], v[21:22], v[51:52]
	;; [unrolled: 1-line block ×3, first 2 shown]
	v_fma_f64 v[4:5], v[39:40], s[6:7], v[37:38]
	v_fma_f64 v[39:40], v[39:40], s[14:15], v[37:38]
	v_add_f64 v[37:38], v[6:7], v[200:201]
	v_add_f64 v[51:52], v[204:205], v[208:209]
	;; [unrolled: 1-line block ×4, first 2 shown]
	v_add_f64 v[49:50], v[204:205], -v[208:209]
	v_fma_f64 v[45:46], v[45:46], -0.5, v[0:1]
	v_add_f64 v[57:58], v[190:191], -v[192:193]
	v_add_f64 v[60:61], v[210:211], -v[212:213]
	v_add_f64 v[37:38], v[37:38], v[41:42]
	v_add_f64 v[41:42], v[200:201], v[41:42]
	v_fma_f64 v[51:52], v[51:52], -0.5, v[2:3]
	v_fma_f64 v[55:56], v[55:56], -0.5, v[184:185]
	v_add_f64 v[35:36], v[35:36], v[202:203]
	v_add_f64 v[27:28], v[27:28], v[62:63]
	;; [unrolled: 1-line block ×3, first 2 shown]
	ds_write_b128 v48, v[19:22]
	ds_write_b128 v48, v[12:15] offset:1088
	ds_write_b128 v48, v[23:26] offset:2176
	;; [unrolled: 1-line block ×5, first 2 shown]
	v_fma_f64 v[41:42], v[41:42], -0.5, v[6:7]
	v_fma_f64 v[188:189], v[57:58], s[14:15], v[55:56]
	v_lshl_add_u32 v8, v16, 4, v254
	v_fma_f64 v[6:7], v[43:44], s[14:15], v[41:42]
	v_fma_f64 v[41:42], v[43:44], s[6:7], v[41:42]
	v_add_f64 v[43:44], v[0:1], v[53:54]
	v_add_f64 v[53:54], v[53:54], -v[206:207]
	v_fma_f64 v[0:1], v[49:50], s[6:7], v[45:46]
	v_fma_f64 v[49:50], v[49:50], s[14:15], v[45:46]
	v_add_f64 v[45:46], v[2:3], v[204:205]
	ds_write_b128 v8, v[35:38] offset:6528
	ds_write_b128 v8, v[4:7] offset:7616
	v_lshl_add_u32 v4, v17, 4, v254
	buffer_store_dword v8, off, s[68:71], 0 offset:404 ; 4-byte Folded Spill
	v_add_f64 v[43:44], v[43:44], v[206:207]
	v_fma_f64 v[2:3], v[53:54], s[14:15], v[51:52]
	v_fma_f64 v[51:52], v[53:54], s[6:7], v[51:52]
	v_add_f64 v[53:54], v[184:185], v[210:211]
	v_fma_f64 v[184:185], v[57:58], s[6:7], v[55:56]
	v_add_f64 v[57:58], v[190:191], v[192:193]
	v_add_f64 v[55:56], v[186:187], v[190:191]
	;; [unrolled: 1-line block ×3, first 2 shown]
	ds_write_b128 v8, v[39:42] offset:8704
	ds_write_b128 v4, v[43:46] offset:9792
	;; [unrolled: 1-line block ×3, first 2 shown]
	v_fma_f64 v[57:58], v[57:58], -0.5, v[186:187]
	v_add_f64 v[53:54], v[53:54], v[212:213]
	v_add_f64 v[55:56], v[55:56], v[192:193]
	v_lshl_add_u32 v0, v18, 4, v254
	buffer_store_dword v4, off, s[68:71], 0 offset:412 ; 4-byte Folded Spill
	ds_write_b128 v4, v[49:52] offset:11968
	v_fma_f64 v[190:191], v[60:61], s[6:7], v[57:58]
	v_fma_f64 v[186:187], v[60:61], s[14:15], v[57:58]
	ds_write_b128 v0, v[53:56] offset:13056
	ds_write_b128 v0, v[184:187] offset:14144
	buffer_store_dword v0, off, s[68:71], 0 offset:420 ; 4-byte Folded Spill
	ds_write_b128 v0, v[188:191] offset:15232
	s_waitcnt vmcnt(0) lgkmcnt(0)
	s_barrier
	ds_read_b128 v[250:253], v48
	ds_read_b128 v[8:11], v48 offset:3264
	ds_read_b128 v[12:15], v48 offset:6528
	;; [unrolled: 1-line block ×14, first 2 shown]
	buffer_load_dword v65, off, s[68:71], 0 ; 4-byte Folded Reload
	s_mov_b32 s14, 0x134454ff
	s_mov_b32 s15, 0x3fee6f0e
	;; [unrolled: 1-line block ×6, first 2 shown]
	s_waitcnt vmcnt(0)
	v_lshlrev_b32_e32 v32, 6, v65
	global_load_dwordx4 v[184:187], v32, s[4:5] offset:3280
	global_load_dwordx4 v[188:191], v32, s[4:5] offset:3264
	;; [unrolled: 1-line block ×4, first 2 shown]
	s_waitcnt vmcnt(0) lgkmcnt(13)
	v_mul_f64 v[32:33], v[10:11], v[198:199]
	v_fma_f64 v[55:56], v[8:9], v[196:197], -v[32:33]
	v_mul_f64 v[8:9], v[8:9], v[198:199]
	v_fma_f64 v[10:11], v[10:11], v[196:197], v[8:9]
	s_waitcnt lgkmcnt(12)
	v_mul_f64 v[8:9], v[14:15], v[194:195]
	v_fma_f64 v[53:54], v[12:13], v[192:193], -v[8:9]
	v_mul_f64 v[8:9], v[12:13], v[194:195]
	v_fma_f64 v[14:15], v[14:15], v[192:193], v[8:9]
	s_waitcnt lgkmcnt(11)
	;; [unrolled: 5-line block ×3, first 2 shown]
	v_mul_f64 v[8:9], v[22:23], v[186:187]
	v_fma_f64 v[57:58], v[20:21], v[184:185], -v[8:9]
	v_mul_f64 v[8:9], v[20:21], v[186:187]
	v_add_f64 v[12:13], v[57:58], -v[254:255]
	v_fma_f64 v[20:21], v[22:23], v[184:185], v[8:9]
	v_lshlrev_b32_e32 v8, 6, v221
	global_load_dwordx4 v[200:203], v8, s[4:5] offset:3280
	global_load_dwordx4 v[204:207], v8, s[4:5] offset:3264
	;; [unrolled: 1-line block ×4, first 2 shown]
	s_waitcnt vmcnt(0) lgkmcnt(8)
	v_mul_f64 v[8:9], v[26:27], v[218:219]
	v_fma_f64 v[18:19], v[24:25], v[216:217], -v[8:9]
	v_mul_f64 v[8:9], v[24:25], v[218:219]
	v_fma_f64 v[32:33], v[26:27], v[216:217], v[8:9]
	s_waitcnt lgkmcnt(7)
	v_mul_f64 v[8:9], v[30:31], v[210:211]
	v_fma_f64 v[22:23], v[28:29], v[208:209], -v[8:9]
	v_mul_f64 v[8:9], v[28:29], v[210:211]
	v_fma_f64 v[34:35], v[30:31], v[208:209], v[8:9]
	s_waitcnt lgkmcnt(6)
	;; [unrolled: 5-line block ×3, first 2 shown]
	v_mul_f64 v[8:9], v[42:43], v[202:203]
	v_fma_f64 v[51:52], v[40:41], v[200:201], -v[8:9]
	v_mul_f64 v[8:9], v[40:41], v[202:203]
	v_fma_f64 v[38:39], v[42:43], v[200:201], v[8:9]
	v_lshlrev_b32_e32 v8, 6, v220
	global_load_dwordx4 v[212:215], v8, s[4:5] offset:3280
	global_load_dwordx4 v[220:223], v8, s[4:5] offset:3264
	;; [unrolled: 1-line block ×4, first 2 shown]
	s_mov_b32 s4, 0x372fe950
	s_mov_b32 s5, 0x3fd3c6ef
	s_waitcnt vmcnt(0) lgkmcnt(3)
	v_mul_f64 v[8:9], v[46:47], v[230:231]
	v_fma_f64 v[40:41], v[44:45], v[228:229], -v[8:9]
	v_mul_f64 v[8:9], v[44:45], v[230:231]
	v_fma_f64 v[24:25], v[46:47], v[228:229], v[8:9]
	s_waitcnt lgkmcnt(2)
	v_mul_f64 v[8:9], v[62:63], v[226:227]
	v_fma_f64 v[42:43], v[60:61], v[224:225], -v[8:9]
	v_mul_f64 v[8:9], v[60:61], v[226:227]
	v_add_f64 v[60:61], v[53:54], -v[55:56]
	v_fma_f64 v[26:27], v[62:63], v[224:225], v[8:9]
	s_waitcnt lgkmcnt(1)
	v_mul_f64 v[8:9], v[6:7], v[222:223]
	v_add_f64 v[62:63], v[254:255], -v[57:58]
	v_fma_f64 v[44:45], v[4:5], v[220:221], -v[8:9]
	v_mul_f64 v[4:5], v[4:5], v[222:223]
	v_add_f64 v[8:9], v[55:56], -v[53:54]
	v_add_f64 v[60:61], v[60:61], v[62:63]
	v_add_f64 v[62:63], v[22:23], -v[18:19]
	v_fma_f64 v[28:29], v[6:7], v[220:221], v[4:5]
	s_waitcnt lgkmcnt(0)
	v_mul_f64 v[4:5], v[2:3], v[214:215]
	v_add_f64 v[6:7], v[14:15], -v[16:17]
	v_add_f64 v[8:9], v[8:9], v[12:13]
	v_fma_f64 v[46:47], v[0:1], v[212:213], -v[4:5]
	v_mul_f64 v[0:1], v[0:1], v[214:215]
	v_fma_f64 v[30:31], v[2:3], v[212:213], v[0:1]
	v_add_f64 v[0:1], v[250:251], v[55:56]
	v_add_f64 v[2:3], v[10:11], -v[20:21]
	v_add_f64 v[0:1], v[0:1], v[53:54]
	v_add_f64 v[0:1], v[0:1], v[254:255]
	;; [unrolled: 1-line block ×4, first 2 shown]
	v_add_f64 v[53:54], v[53:54], -v[254:255]
	v_fma_f64 v[0:1], v[0:1], -0.5, v[250:251]
	v_fma_f64 v[4:5], v[2:3], s[14:15], v[0:1]
	v_fma_f64 v[0:1], v[2:3], s[16:17], v[0:1]
	;; [unrolled: 1-line block ×6, first 2 shown]
	v_add_f64 v[8:9], v[55:56], v[57:58]
	v_add_f64 v[55:56], v[55:56], -v[57:58]
	v_add_f64 v[57:58], v[10:11], -v[14:15]
	v_fma_f64 v[8:9], v[8:9], -0.5, v[250:251]
	v_fma_f64 v[12:13], v[6:7], s[16:17], v[8:9]
	v_fma_f64 v[6:7], v[6:7], s[14:15], v[8:9]
	;; [unrolled: 1-line block ×6, first 2 shown]
	v_add_f64 v[2:3], v[252:253], v[10:11]
	v_add_f64 v[60:61], v[20:21], -v[16:17]
	v_add_f64 v[2:3], v[2:3], v[14:15]
	v_add_f64 v[57:58], v[57:58], v[60:61]
	;; [unrolled: 1-line block ×5, first 2 shown]
	v_fma_f64 v[2:3], v[2:3], -0.5, v[252:253]
	v_fma_f64 v[6:7], v[55:56], s[16:17], v[2:3]
	v_fma_f64 v[2:3], v[55:56], s[14:15], v[2:3]
	;; [unrolled: 1-line block ×6, first 2 shown]
	v_add_f64 v[57:58], v[10:11], v[20:21]
	v_add_f64 v[10:11], v[14:15], -v[10:11]
	v_add_f64 v[14:15], v[16:17], -v[20:21]
	v_fma_f64 v[57:58], v[57:58], -0.5, v[252:253]
	v_add_f64 v[10:11], v[10:11], v[14:15]
	v_fma_f64 v[60:61], v[53:54], s[14:15], v[57:58]
	v_fma_f64 v[16:17], v[53:54], s[16:17], v[57:58]
	v_add_f64 v[53:54], v[32:33], -v[38:39]
	v_add_f64 v[57:58], v[18:19], -v[22:23]
	v_fma_f64 v[60:61], v[55:56], s[18:19], v[60:61]
	v_fma_f64 v[16:17], v[55:56], s[6:7], v[16:17]
	v_add_f64 v[55:56], v[34:35], -v[36:37]
	v_fma_f64 v[14:15], v[10:11], s[4:5], v[60:61]
	v_fma_f64 v[10:11], v[10:11], s[4:5], v[16:17]
	v_add_f64 v[16:17], v[244:245], v[18:19]
	v_add_f64 v[60:61], v[51:52], -v[49:50]
	ds_write_b128 v48, v[248:251]
	ds_write_b128 v48, v[4:7] offset:3264
	ds_write_b128 v48, v[12:15] offset:6528
	v_add_f64 v[16:17], v[16:17], v[22:23]
	v_add_f64 v[57:58], v[57:58], v[60:61]
	;; [unrolled: 1-line block ×5, first 2 shown]
	v_fma_f64 v[16:17], v[16:17], -0.5, v[244:245]
	v_fma_f64 v[20:21], v[53:54], s[14:15], v[16:17]
	v_fma_f64 v[16:17], v[53:54], s[16:17], v[16:17]
	;; [unrolled: 1-line block ×6, first 2 shown]
	v_add_f64 v[57:58], v[18:19], v[51:52]
	v_fma_f64 v[57:58], v[57:58], -0.5, v[244:245]
	v_add_f64 v[244:245], v[49:50], -v[51:52]
	v_add_f64 v[51:52], v[18:19], -v[51:52]
	;; [unrolled: 1-line block ×4, first 2 shown]
	v_fma_f64 v[60:61], v[55:56], s[16:17], v[57:58]
	v_fma_f64 v[55:56], v[55:56], s[14:15], v[57:58]
	v_add_f64 v[57:58], v[38:39], -v[36:37]
	v_add_f64 v[62:63], v[62:63], v[244:245]
	v_fma_f64 v[60:61], v[53:54], s[6:7], v[60:61]
	v_fma_f64 v[53:54], v[53:54], s[18:19], v[55:56]
	v_add_f64 v[55:56], v[246:247], v[32:33]
	v_add_f64 v[57:58], v[22:23], v[57:58]
	v_fma_f64 v[60:61], v[62:63], s[4:5], v[60:61]
	v_fma_f64 v[53:54], v[62:63], s[4:5], v[53:54]
	v_add_f64 v[55:56], v[55:56], v[34:35]
	v_add_f64 v[55:56], v[55:56], v[36:37]
	;; [unrolled: 1-line block ×4, first 2 shown]
	v_fma_f64 v[55:56], v[55:56], -0.5, v[246:247]
	v_fma_f64 v[18:19], v[51:52], s[16:17], v[55:56]
	v_fma_f64 v[18:19], v[49:50], s[18:19], v[18:19]
	;; [unrolled: 1-line block ×4, first 2 shown]
	v_add_f64 v[55:56], v[32:33], v[38:39]
	v_add_f64 v[32:33], v[34:35], -v[32:33]
	v_add_f64 v[34:35], v[36:37], -v[38:39]
	;; [unrolled: 1-line block ×3, first 2 shown]
	v_fma_f64 v[18:19], v[49:50], s[6:7], v[18:19]
	v_fma_f64 v[55:56], v[55:56], -0.5, v[246:247]
	v_add_f64 v[32:33], v[32:33], v[34:35]
	v_fma_f64 v[18:19], v[57:58], s[4:5], v[18:19]
	v_fma_f64 v[34:35], v[49:50], s[16:17], v[55:56]
	;; [unrolled: 1-line block ×3, first 2 shown]
	v_add_f64 v[49:50], v[40:41], -v[42:43]
	v_fma_f64 v[34:35], v[51:52], s[6:7], v[34:35]
	v_fma_f64 v[57:58], v[51:52], s[18:19], v[57:58]
	v_add_f64 v[51:52], v[26:27], -v[28:29]
	v_fma_f64 v[55:56], v[32:33], s[4:5], v[34:35]
	v_add_f64 v[34:35], v[42:43], v[44:45]
	v_fma_f64 v[62:63], v[32:33], s[4:5], v[57:58]
	v_add_f64 v[57:58], v[46:47], -v[44:45]
	v_add_f64 v[32:33], v[240:241], v[40:41]
	v_fma_f64 v[34:35], v[34:35], -0.5, v[240:241]
	v_add_f64 v[49:50], v[49:50], v[57:58]
	v_add_f64 v[32:33], v[32:33], v[42:43]
	v_add_f64 v[57:58], v[42:43], -v[40:41]
	v_add_f64 v[42:43], v[42:43], -v[44:45]
	v_fma_f64 v[36:37], v[38:39], s[14:15], v[34:35]
	v_fma_f64 v[34:35], v[38:39], s[16:17], v[34:35]
	v_add_f64 v[32:33], v[32:33], v[44:45]
	v_fma_f64 v[36:37], v[51:52], s[6:7], v[36:37]
	v_fma_f64 v[34:35], v[51:52], s[18:19], v[34:35]
	v_add_f64 v[32:33], v[32:33], v[46:47]
	;; [unrolled: 3-line block ×3, first 2 shown]
	v_add_f64 v[40:41], v[40:41], -v[46:47]
	v_fma_f64 v[34:35], v[34:35], -0.5, v[240:241]
	v_add_f64 v[240:241], v[44:45], -v[46:47]
	v_add_f64 v[44:45], v[24:25], -v[26:27]
	;; [unrolled: 1-line block ×3, first 2 shown]
	v_fma_f64 v[49:50], v[51:52], s[16:17], v[34:35]
	v_fma_f64 v[34:35], v[51:52], s[14:15], v[34:35]
	v_add_f64 v[57:58], v[57:58], v[240:241]
	v_add_f64 v[44:45], v[44:45], v[46:47]
	v_fma_f64 v[49:50], v[38:39], s[6:7], v[49:50]
	v_fma_f64 v[34:35], v[38:39], s[18:19], v[34:35]
	v_add_f64 v[38:39], v[26:27], v[28:29]
	v_fma_f64 v[49:50], v[57:58], s[4:5], v[49:50]
	v_fma_f64 v[240:241], v[57:58], s[4:5], v[34:35]
	v_fma_f64 v[51:52], v[38:39], -0.5, v[242:243]
	v_add_f64 v[34:35], v[242:243], v[24:25]
	v_lshl_add_u32 v57, v65, 4, v64
	v_fma_f64 v[38:39], v[40:41], s[16:17], v[51:52]
	v_fma_f64 v[46:47], v[40:41], s[14:15], v[51:52]
	v_add_f64 v[34:35], v[34:35], v[26:27]
	v_fma_f64 v[38:39], v[42:43], s[18:19], v[38:39]
	v_fma_f64 v[46:47], v[42:43], s[6:7], v[46:47]
	v_add_f64 v[34:35], v[34:35], v[28:29]
	;; [unrolled: 3-line block ×3, first 2 shown]
	v_add_f64 v[24:25], v[26:27], -v[24:25]
	v_add_f64 v[26:27], v[28:29], -v[30:31]
	v_add_f64 v[34:35], v[34:35], v[30:31]
	v_fma_f64 v[44:45], v[44:45], -0.5, v[242:243]
	v_add_f64 v[24:25], v[24:25], v[26:27]
	v_fma_f64 v[46:47], v[42:43], s[14:15], v[44:45]
	v_fma_f64 v[26:27], v[42:43], s[16:17], v[44:45]
	;; [unrolled: 1-line block ×4, first 2 shown]
	s_movk_i32 s6, 0x3000
	v_fma_f64 v[51:52], v[24:25], s[4:5], v[46:47]
	v_fma_f64 v[242:243], v[24:25], s[4:5], v[26:27]
	ds_write_b128 v57, v[8:11] offset:9792
	ds_write_b128 v57, v[0:3] offset:13056
	;; [unrolled: 1-line block ×12, first 2 shown]
	s_waitcnt lgkmcnt(0)
	s_barrier
	buffer_load_dword v18, off, s[68:71], 0 offset:4 ; 4-byte Folded Reload
	s_movk_i32 s4, 0x3fc0
	ds_read_b128 v[2:5], v48
	s_waitcnt vmcnt(0)
	v_add_co_u32_e32 v0, vcc, s4, v18
	v_addc_co_u32_e32 v1, vcc, 0, v59, vcc
	v_add_co_u32_e32 v6, vcc, s6, v18
	v_addc_co_u32_e32 v7, vcc, 0, v59, vcc
	global_load_dwordx4 v[6:9], v[6:7], off offset:4032
	s_movk_i32 s4, 0x5000
	v_add_co_u32_e32 v14, vcc, s4, v18
	v_addc_co_u32_e32 v15, vcc, 0, v59, vcc
	s_movk_i32 s4, 0x6000
	v_add_co_u32_e32 v16, vcc, s4, v18
	v_addc_co_u32_e32 v17, vcc, 0, v59, vcc
	s_movk_i32 s4, 0x7000
	s_waitcnt vmcnt(0) lgkmcnt(0)
	v_mul_f64 v[10:11], v[4:5], v[8:9]
	v_fma_f64 v[10:11], v[2:3], v[6:7], -v[10:11]
	v_mul_f64 v[2:3], v[2:3], v[8:9]
	v_fma_f64 v[12:13], v[4:5], v[6:7], v[2:3]
	global_load_dwordx4 v[6:9], v[14:15], off offset:4000
	ds_read_b128 v[2:5], v48 offset:8160
	ds_write_b128 v48, v[10:13]
	s_waitcnt vmcnt(0) lgkmcnt(1)
	v_mul_f64 v[10:11], v[4:5], v[8:9]
	v_fma_f64 v[10:11], v[2:3], v[6:7], -v[10:11]
	v_mul_f64 v[2:3], v[2:3], v[8:9]
	v_fma_f64 v[12:13], v[4:5], v[6:7], v[2:3]
	global_load_dwordx4 v[6:9], v[0:1], off offset:1088
	ds_read_b128 v[2:5], v48 offset:1088
	ds_write_b128 v48, v[10:13] offset:8160
	s_waitcnt vmcnt(0) lgkmcnt(1)
	v_mul_f64 v[10:11], v[4:5], v[8:9]
	v_fma_f64 v[10:11], v[2:3], v[6:7], -v[10:11]
	v_mul_f64 v[2:3], v[2:3], v[8:9]
	v_fma_f64 v[12:13], v[4:5], v[6:7], v[2:3]
	global_load_dwordx4 v[6:9], v[16:17], off offset:992
	ds_read_b128 v[2:5], v48 offset:9248
	ds_write_b128 v48, v[10:13] offset:1088
	;; [unrolled: 8-line block ×5, first 2 shown]
	s_waitcnt vmcnt(0) lgkmcnt(1)
	v_mul_f64 v[10:11], v[4:5], v[8:9]
	v_fma_f64 v[10:11], v[2:3], v[6:7], -v[10:11]
	v_mul_f64 v[2:3], v[2:3], v[8:9]
	v_fma_f64 v[12:13], v[4:5], v[6:7], v[2:3]
	global_load_dwordx4 v[6:9], v[16:17], off offset:3168
	ds_read_b128 v[2:5], v48 offset:11424
	v_add_co_u32_e32 v16, vcc, s4, v18
	v_addc_co_u32_e32 v17, vcc, 0, v59, vcc
	ds_write_b128 v48, v[10:13] offset:3264
	s_waitcnt vmcnt(0) lgkmcnt(1)
	v_mul_f64 v[10:11], v[4:5], v[8:9]
	v_fma_f64 v[10:11], v[2:3], v[6:7], -v[10:11]
	v_mul_f64 v[2:3], v[2:3], v[8:9]
	v_fma_f64 v[12:13], v[4:5], v[6:7], v[2:3]
	global_load_dwordx4 v[6:9], v[14:15], off offset:192
	ds_read_b128 v[2:5], v48 offset:4352
	ds_write_b128 v48, v[10:13] offset:11424
	s_waitcnt vmcnt(0) lgkmcnt(1)
	v_mul_f64 v[10:11], v[4:5], v[8:9]
	v_fma_f64 v[10:11], v[2:3], v[6:7], -v[10:11]
	v_mul_f64 v[2:3], v[2:3], v[8:9]
	v_fma_f64 v[12:13], v[4:5], v[6:7], v[2:3]
	global_load_dwordx4 v[6:9], v[16:17], off offset:160
	ds_read_b128 v[2:5], v48 offset:12512
	;; [unrolled: 8-line block ×6, first 2 shown]
	ds_write_b128 v48, v[10:13] offset:6528
	s_waitcnt vmcnt(0) lgkmcnt(1)
	v_mul_f64 v[10:11], v[4:5], v[8:9]
	v_fma_f64 v[10:11], v[2:3], v[6:7], -v[10:11]
	v_mul_f64 v[2:3], v[2:3], v[8:9]
	v_fma_f64 v[12:13], v[4:5], v[6:7], v[2:3]
	ds_write_b128 v48, v[10:13] offset:14688
	s_and_saveexec_b64 s[4:5], s[0:1]
	s_cbranch_execz .LBB0_17
; %bb.16:
	v_add_co_u32_e32 v6, vcc, 0x1000, v0
	v_addc_co_u32_e32 v7, vcc, 0, v1, vcc
	global_load_dwordx4 v[6:9], v[6:7], off offset:3520
	ds_read_b128 v[2:5], v48 offset:7616
	v_add_co_u32_e32 v0, vcc, s6, v0
	v_addc_co_u32_e32 v1, vcc, 0, v1, vcc
	s_waitcnt vmcnt(0) lgkmcnt(0)
	v_mul_f64 v[10:11], v[4:5], v[8:9]
	v_fma_f64 v[10:11], v[2:3], v[6:7], -v[10:11]
	v_mul_f64 v[2:3], v[2:3], v[8:9]
	v_fma_f64 v[12:13], v[4:5], v[6:7], v[2:3]
	global_load_dwordx4 v[6:9], v[0:1], off offset:3488
	ds_read_b128 v[2:5], v48 offset:15776
	ds_write_b128 v48, v[10:13] offset:7616
	s_waitcnt vmcnt(0) lgkmcnt(1)
	v_mul_f64 v[0:1], v[4:5], v[8:9]
	v_fma_f64 v[0:1], v[2:3], v[6:7], -v[0:1]
	v_mul_f64 v[2:3], v[2:3], v[8:9]
	v_fma_f64 v[2:3], v[4:5], v[6:7], v[2:3]
	ds_write_b128 v48, v[0:3] offset:15776
.LBB0_17:
	s_or_b64 exec, exec, s[4:5]
	s_waitcnt lgkmcnt(0)
	s_barrier
	ds_read_b128 v[16:19], v48
	ds_read_b128 v[248:251], v48 offset:1088
	ds_read_b128 v[8:11], v48 offset:9248
	;; [unrolled: 1-line block ×13, first 2 shown]
	s_and_saveexec_b64 s[4:5], s[0:1]
	s_cbranch_execz .LBB0_19
; %bb.18:
	ds_read_b128 v[244:247], v57 offset:7616
	ds_read_b128 v[236:239], v57 offset:15776
.LBB0_19:
	s_or_b64 exec, exec, s[4:5]
	s_waitcnt lgkmcnt(3)
	v_add_f64 v[0:1], v[16:17], -v[0:1]
	v_add_f64 v[8:9], v[248:249], -v[8:9]
	s_waitcnt lgkmcnt(1)
	v_add_f64 v[24:25], v[36:37], -v[24:25]
	s_waitcnt lgkmcnt(0)
	v_add_f64 v[28:29], v[44:45], -v[28:29]
	s_barrier
	v_add_f64 v[2:3], v[18:19], -v[2:3]
	v_fma_f64 v[240:241], v[16:17], 2.0, -v[0:1]
	v_fma_f64 v[16:17], v[248:249], 2.0, -v[8:9]
	v_add_f64 v[248:249], v[32:33], -v[40:41]
	v_add_f64 v[40:41], v[244:245], -v[236:237]
	v_fma_f64 v[236:237], v[36:37], 2.0, -v[24:25]
	v_fma_f64 v[36:37], v[44:45], 2.0, -v[28:29]
	buffer_load_dword v44, off, s[68:71], 0 offset:340 ; 4-byte Folded Reload
	v_fma_f64 v[242:243], v[18:19], 2.0, -v[2:3]
	v_add_f64 v[10:11], v[250:251], -v[10:11]
	v_add_f64 v[4:5], v[252:253], -v[4:5]
	;; [unrolled: 1-line block ×5, first 2 shown]
	v_fma_f64 v[32:33], v[32:33], 2.0, -v[248:249]
	v_add_f64 v[26:27], v[38:39], -v[26:27]
	v_add_f64 v[30:31], v[46:47], -v[30:31]
	v_fma_f64 v[18:19], v[250:251], 2.0, -v[10:11]
	v_fma_f64 v[252:253], v[252:253], 2.0, -v[4:5]
	;; [unrolled: 1-line block ×5, first 2 shown]
	v_add_f64 v[250:251], v[34:35], -v[42:43]
	v_add_f64 v[42:43], v[246:247], -v[238:239]
	v_fma_f64 v[238:239], v[38:39], 2.0, -v[26:27]
	v_fma_f64 v[38:39], v[46:47], 2.0, -v[30:31]
	;; [unrolled: 1-line block ×3, first 2 shown]
	s_waitcnt vmcnt(0)
	ds_write_b128 v44, v[240:243]
	ds_write_b128 v44, v[0:3] offset:16
	buffer_load_dword v44, off, s[68:71], 0 offset:348 ; 4-byte Folded Reload
	v_fma_f64 v[34:35], v[34:35], 2.0, -v[250:251]
	v_fma_f64 v[246:247], v[246:247], 2.0, -v[42:43]
	s_waitcnt vmcnt(0)
	ds_write_b128 v44, v[16:19]
	ds_write_b128 v44, v[8:11] offset:16
	buffer_load_dword v44, off, s[68:71], 0 offset:364 ; 4-byte Folded Reload
	s_waitcnt vmcnt(0)
	ds_write_b128 v44, v[252:255]
	ds_write_b128 v44, v[4:7] offset:16
	buffer_load_dword v44, off, s[68:71], 0 offset:372 ; 4-byte Folded Reload
	;; [unrolled: 4-line block ×5, first 2 shown]
	s_waitcnt vmcnt(0)
	ds_write_b128 v44, v[36:39]
	ds_write_b128 v44, v[28:31] offset:16
	s_and_saveexec_b64 s[4:5], s[0:1]
	s_cbranch_execz .LBB0_21
; %bb.20:
	buffer_load_dword v44, off, s[68:71], 0 offset:444 ; 4-byte Folded Reload
	s_waitcnt vmcnt(0)
	ds_write_b128 v44, v[244:247]
	ds_write_b128 v44, v[40:43] offset:16
.LBB0_21:
	s_or_b64 exec, exec, s[4:5]
	s_waitcnt lgkmcnt(0)
	s_barrier
	s_and_saveexec_b64 s[4:5], s[2:3]
	s_cbranch_execz .LBB0_23
; %bb.22:
	ds_read_b128 v[240:243], v48
	ds_read_b128 v[0:3], v48 offset:960
	ds_read_b128 v[16:19], v48 offset:1920
	ds_read_b128 v[8:11], v48 offset:2880
	ds_read_b128 v[252:255], v48 offset:3840
	ds_read_b128 v[4:7], v48 offset:4800
	ds_read_b128 v[20:23], v48 offset:5760
	ds_read_b128 v[12:15], v48 offset:6720
	ds_read_b128 v[32:35], v48 offset:7680
	ds_read_b128 v[248:251], v48 offset:8640
	ds_read_b128 v[236:239], v48 offset:9600
	ds_read_b128 v[24:27], v48 offset:10560
	ds_read_b128 v[36:39], v48 offset:11520
	ds_read_b128 v[28:31], v48 offset:12480
	ds_read_b128 v[244:247], v48 offset:13440
	ds_read_b128 v[40:43], v48 offset:14400
	ds_read_b128 v[232:235], v48 offset:15360
.LBB0_23:
	s_or_b64 exec, exec, s[4:5]
	s_waitcnt lgkmcnt(14)
	v_mul_f64 v[44:45], v[122:123], v[2:3]
	s_mov_b32 s6, 0x2a9d6da3
	s_mov_b32 s7, 0xbfe58eea
	s_mov_b32 s4, 0x75d4884
	s_mov_b32 s14, 0x2b2883cd
	s_mov_b32 s16, 0x7c9e640b
	s_mov_b32 s22, 0xeb564b22
	s_mov_b32 s5, 0x3fe7a5f6
	v_fma_f64 v[44:45], v[120:121], v[0:1], v[44:45]
	v_mul_f64 v[0:1], v[122:123], v[0:1]
	s_mov_b32 s15, 0x3fdc86fa
	s_mov_b32 s17, 0xbfeca52d
	;; [unrolled: 1-line block ×7, first 2 shown]
	v_fma_f64 v[122:123], v[120:121], v[2:3], -v[0:1]
	v_mul_f64 v[0:1], v[114:115], v[18:19]
	s_mov_b32 s20, 0x6ed5f1bb
	s_mov_b32 s21, 0xbfe348c8
	;; [unrolled: 1-line block ×7, first 2 shown]
	v_fma_f64 v[55:56], v[112:113], v[16:17], v[0:1]
	v_mul_f64 v[0:1], v[114:115], v[16:17]
	s_mov_b32 s30, s46
	s_mov_b32 s42, 0x923c349f
	;; [unrolled: 1-line block ×7, first 2 shown]
	v_fma_f64 v[60:61], v[112:113], v[18:19], -v[0:1]
	s_waitcnt lgkmcnt(13)
	v_mul_f64 v[0:1], v[102:103], v[10:11]
	s_mov_b32 s34, 0x910ea3b9
	s_mov_b32 s35, 0xbfeb34fa
	;; [unrolled: 1-line block ×7, first 2 shown]
	v_fma_f64 v[16:17], v[100:101], v[8:9], v[0:1]
	v_mul_f64 v[0:1], v[102:103], v[8:9]
	s_mov_b32 s39, 0x3fedd6d0
	s_mov_b32 s53, 0x3feca52d
	;; [unrolled: 1-line block ×7, first 2 shown]
	v_fma_f64 v[62:63], v[100:101], v[10:11], -v[0:1]
	s_waitcnt lgkmcnt(12)
	v_mul_f64 v[0:1], v[94:95], v[254:255]
	v_fma_f64 v[10:11], v[92:93], v[252:253], v[0:1]
	v_mul_f64 v[0:1], v[94:95], v[252:253]
	v_fma_f64 v[64:65], v[92:93], v[254:255], -v[0:1]
	s_waitcnt lgkmcnt(11)
	v_mul_f64 v[0:1], v[138:139], v[6:7]
	v_fma_f64 v[58:59], v[136:137], v[4:5], v[0:1]
	v_mul_f64 v[0:1], v[138:139], v[4:5]
	;; [unrolled: 5-line block ×6, first 2 shown]
	v_add_f64 v[252:253], v[114:115], v[32:33]
	v_fma_f64 v[92:93], v[144:145], v[250:251], -v[0:1]
	s_waitcnt lgkmcnt(6)
	v_mul_f64 v[0:1], v[142:143], v[238:239]
	v_add_f64 v[22:23], v[114:115], -v[32:33]
	v_fma_f64 v[146:147], v[140:141], v[236:237], v[0:1]
	v_mul_f64 v[0:1], v[142:143], v[236:237]
	v_add_f64 v[46:47], v[112:113], v[146:147]
	v_fma_f64 v[20:21], v[140:141], v[238:239], -v[0:1]
	s_waitcnt lgkmcnt(5)
	v_mul_f64 v[0:1], v[134:135], v[26:27]
	v_add_f64 v[49:50], v[116:117], v[20:21]
	v_fma_f64 v[254:255], v[132:133], v[24:25], v[0:1]
	v_mul_f64 v[0:1], v[134:135], v[24:25]
	v_mul_f64 v[144:145], v[49:50], s[18:19]
	v_add_f64 v[53:54], v[66:67], -v[254:255]
	v_fma_f64 v[14:15], v[132:133], v[26:27], -v[0:1]
	s_waitcnt lgkmcnt(4)
	v_mul_f64 v[0:1], v[130:131], v[38:39]
	v_fma_f64 v[142:143], v[128:129], v[36:37], v[0:1]
	v_mul_f64 v[0:1], v[130:131], v[36:37]
	v_add_f64 v[250:251], v[58:59], v[142:143]
	v_fma_f64 v[12:13], v[128:129], v[38:39], -v[0:1]
	s_waitcnt lgkmcnt(3)
	v_mul_f64 v[0:1], v[166:167], v[30:31]
	v_add_f64 v[238:239], v[138:139], v[12:13]
	v_fma_f64 v[124:125], v[164:165], v[28:29], v[0:1]
	v_mul_f64 v[0:1], v[166:167], v[28:29]
	v_add_f64 v[236:237], v[10:11], -v[124:125]
	v_fma_f64 v[126:127], v[164:165], v[30:31], -v[0:1]
	s_waitcnt lgkmcnt(2)
	v_mul_f64 v[0:1], v[162:163], v[246:247]
	v_add_f64 v[248:249], v[64:65], -v[126:127]
	v_fma_f64 v[34:35], v[160:161], v[244:245], v[0:1]
	v_mul_f64 v[0:1], v[162:163], v[244:245]
	v_add_f64 v[162:163], v[16:17], v[34:35]
	v_fma_f64 v[36:37], v[160:161], v[246:247], -v[0:1]
	s_waitcnt lgkmcnt(1)
	v_mul_f64 v[0:1], v[158:159], v[42:43]
	v_add_f64 v[104:105], v[16:17], -v[34:35]
	v_add_f64 v[166:167], v[62:63], -v[36:37]
	v_fma_f64 v[26:27], v[156:157], v[40:41], v[0:1]
	v_mul_f64 v[0:1], v[158:159], v[40:41]
	v_add_f64 v[164:165], v[62:63], v[36:37]
	v_add_f64 v[246:247], v[55:56], -v[26:27]
	v_fma_f64 v[28:29], v[156:157], v[42:43], -v[0:1]
	s_waitcnt lgkmcnt(0)
	v_mul_f64 v[0:1], v[110:111], v[234:235]
	v_add_f64 v[156:157], v[55:56], v[26:27]
	v_add_f64 v[160:161], v[60:61], -v[28:29]
	v_fma_f64 v[24:25], v[108:109], v[232:233], v[0:1]
	v_mul_f64 v[0:1], v[110:111], v[232:233]
	v_add_f64 v[158:159], v[60:61], v[28:29]
	v_add_f64 v[232:233], v[10:11], v[124:125]
	;; [unrolled: 1-line block ×3, first 2 shown]
	v_mul_f64 v[8:9], v[160:161], s[22:23]
	v_add_f64 v[42:43], v[44:45], v[24:25]
	v_fma_f64 v[40:41], v[108:109], v[234:235], -v[0:1]
	v_mul_f64 v[18:19], v[158:159], s[18:19]
	v_add_f64 v[244:245], v[44:45], -v[24:25]
	v_add_f64 v[234:235], v[64:65], v[126:127]
	v_add_f64 v[108:109], v[66:67], v[254:255]
	v_mul_f64 v[132:133], v[110:111], s[38:39]
	v_add_f64 v[130:131], v[122:123], -v[40:41]
	v_add_f64 v[128:129], v[122:123], v[40:41]
	v_mul_f64 v[0:1], v[130:131], s[6:7]
	v_mul_f64 v[2:3], v[128:129], s[4:5]
	buffer_store_dword v0, off, s[68:71], 0 offset:380 ; 4-byte Folded Spill
	s_nop 0
	buffer_store_dword v1, off, s[68:71], 0 offset:384 ; 4-byte Folded Spill
	v_mul_f64 v[4:5], v[130:131], s[16:17]
	v_mul_f64 v[6:7], v[128:129], s[14:15]
	buffer_store_dword v2, off, s[68:71], 0 offset:388 ; 4-byte Folded Spill
	s_nop 0
	buffer_store_dword v3, off, s[68:71], 0 offset:392 ; 4-byte Folded Spill
	buffer_store_dword v4, off, s[68:71], 0 offset:484 ; 4-byte Folded Spill
	s_nop 0
	buffer_store_dword v5, off, s[68:71], 0 offset:488 ; 4-byte Folded Spill
	;; [unrolled: 3-line block ×5, first 2 shown]
	v_fma_f64 v[0:1], v[42:43], s[4:5], -v[0:1]
	v_fma_f64 v[2:3], v[244:245], s[6:7], v[2:3]
	v_add_f64 v[0:1], v[240:241], v[0:1]
	v_fma_f64 v[4:5], v[42:43], s[14:15], -v[4:5]
	v_fma_f64 v[6:7], v[244:245], s[16:17], v[6:7]
	v_fma_f64 v[8:9], v[156:157], s[18:19], -v[8:9]
	v_add_f64 v[2:3], v[242:243], v[2:3]
	v_add_f64 v[4:5], v[240:241], v[4:5]
	;; [unrolled: 1-line block ×4, first 2 shown]
	v_fma_f64 v[8:9], v[246:247], s[22:23], v[18:19]
	v_mul_f64 v[18:19], v[158:159], s[20:21]
	v_add_f64 v[2:3], v[8:9], v[2:3]
	v_mul_f64 v[8:9], v[160:161], s[24:25]
	buffer_store_dword v8, off, s[68:71], 0 offset:516 ; 4-byte Folded Spill
	s_nop 0
	buffer_store_dword v9, off, s[68:71], 0 offset:520 ; 4-byte Folded Spill
	buffer_store_dword v18, off, s[68:71], 0 offset:524 ; 4-byte Folded Spill
	s_nop 0
	buffer_store_dword v19, off, s[68:71], 0 offset:528 ; 4-byte Folded Spill
	v_fma_f64 v[8:9], v[156:157], s[20:21], -v[8:9]
	v_add_f64 v[4:5], v[8:9], v[4:5]
	v_fma_f64 v[8:9], v[246:247], s[24:25], v[18:19]
	v_mul_f64 v[18:19], v[164:165], s[20:21]
	v_add_f64 v[6:7], v[8:9], v[6:7]
	v_mul_f64 v[8:9], v[166:167], s[24:25]
	buffer_store_dword v8, off, s[68:71], 0 offset:460 ; 4-byte Folded Spill
	s_nop 0
	buffer_store_dword v9, off, s[68:71], 0 offset:464 ; 4-byte Folded Spill
	buffer_store_dword v18, off, s[68:71], 0 offset:468 ; 4-byte Folded Spill
	s_nop 0
	buffer_store_dword v19, off, s[68:71], 0 offset:472 ; 4-byte Folded Spill
	v_fma_f64 v[8:9], v[162:163], s[20:21], -v[8:9]
	v_add_f64 v[0:1], v[8:9], v[0:1]
	;; [unrolled: 12-line block ×4, first 2 shown]
	v_fma_f64 v[8:9], v[236:237], s[30:31], v[18:19]
	v_mul_f64 v[18:19], v[234:235], s[28:29]
	v_add_f64 v[2:3], v[8:9], v[2:3]
	v_mul_f64 v[8:9], v[248:249], s[42:43]
	buffer_store_dword v8, off, s[68:71], 0 offset:588 ; 4-byte Folded Spill
	s_nop 0
	buffer_store_dword v9, off, s[68:71], 0 offset:592 ; 4-byte Folded Spill
	buffer_store_dword v18, off, s[68:71], 0 offset:596 ; 4-byte Folded Spill
	s_nop 0
	buffer_store_dword v19, off, s[68:71], 0 offset:600 ; 4-byte Folded Spill
	;; [unrolled: 3-line block ×3, first 2 shown]
	v_fma_f64 v[8:9], v[232:233], s[28:29], -v[8:9]
	v_add_f64 v[106:107], v[138:139], -v[12:13]
	v_mul_f64 v[12:13], v[238:239], s[34:35]
	v_add_f64 v[4:5], v[8:9], v[4:5]
	v_fma_f64 v[8:9], v[236:237], s[42:43], v[18:19]
	v_add_f64 v[18:19], v[58:59], -v[142:143]
	v_add_f64 v[6:7], v[8:9], v[6:7]
	v_mul_f64 v[8:9], v[106:107], s[48:49]
	buffer_store_dword v8, off, s[68:71], 0 offset:476 ; 4-byte Folded Spill
	s_nop 0
	buffer_store_dword v9, off, s[68:71], 0 offset:480 ; 4-byte Folded Spill
	buffer_store_dword v12, off, s[68:71], 0 offset:532 ; 4-byte Folded Spill
	s_nop 0
	buffer_store_dword v13, off, s[68:71], 0 offset:536 ; 4-byte Folded Spill
	v_fma_f64 v[8:9], v[250:251], s[34:35], -v[8:9]
	v_add_f64 v[0:1], v[8:9], v[0:1]
	v_fma_f64 v[8:9], v[18:19], s[48:49], v[12:13]
	v_mul_f64 v[12:13], v[238:239], s[4:5]
	v_add_f64 v[2:3], v[8:9], v[2:3]
	v_mul_f64 v[8:9], v[106:107], s[50:51]
	buffer_store_dword v8, off, s[68:71], 0 offset:620 ; 4-byte Folded Spill
	s_nop 0
	buffer_store_dword v9, off, s[68:71], 0 offset:624 ; 4-byte Folded Spill
	buffer_store_dword v12, off, s[68:71], 0 offset:628 ; 4-byte Folded Spill
	s_nop 0
	buffer_store_dword v13, off, s[68:71], 0 offset:632 ; 4-byte Folded Spill
	;; [unrolled: 3-line block ×3, first 2 shown]
	v_fma_f64 v[8:9], v[250:251], s[4:5], -v[8:9]
	v_add_f64 v[51:52], v[120:121], -v[14:15]
	v_add_f64 v[14:15], v[112:113], -v[146:147]
	v_add_f64 v[4:5], v[8:9], v[4:5]
	v_fma_f64 v[8:9], v[18:19], s[50:51], v[12:13]
	v_mul_f64 v[12:13], v[110:111], s[28:29]
	v_mul_f64 v[30:31], v[51:52], s[40:41]
	v_add_f64 v[6:7], v[8:9], v[6:7]
	v_mul_f64 v[8:9], v[51:52], s[42:43]
	buffer_store_dword v8, off, s[68:71], 0 offset:508 ; 4-byte Folded Spill
	s_nop 0
	buffer_store_dword v9, off, s[68:71], 0 offset:512 ; 4-byte Folded Spill
	buffer_store_dword v12, off, s[68:71], 0 offset:580 ; 4-byte Folded Spill
	s_nop 0
	buffer_store_dword v13, off, s[68:71], 0 offset:584 ; 4-byte Folded Spill
	;; [unrolled: 3-line block ×3, first 2 shown]
	v_fma_f64 v[8:9], v[108:109], s[28:29], -v[8:9]
	v_add_f64 v[20:21], v[116:117], -v[20:21]
	v_add_f64 v[0:1], v[8:9], v[0:1]
	v_fma_f64 v[8:9], v[53:54], s[42:43], v[12:13]
	v_mul_f64 v[12:13], v[49:50], s[14:15]
	v_mul_f64 v[140:141], v[20:21], s[22:23]
	v_add_f64 v[2:3], v[8:9], v[2:3]
	v_fma_f64 v[8:9], v[108:109], s[38:39], -v[30:31]
	v_add_f64 v[4:5], v[8:9], v[4:5]
	v_fma_f64 v[8:9], v[53:54], s[40:41], v[132:133]
	v_add_f64 v[6:7], v[8:9], v[6:7]
	v_mul_f64 v[8:9], v[20:21], s[52:53]
	buffer_store_dword v8, off, s[68:71], 0 offset:540 ; 4-byte Folded Spill
	s_nop 0
	buffer_store_dword v9, off, s[68:71], 0 offset:544 ; 4-byte Folded Spill
	buffer_store_dword v12, off, s[68:71], 0 offset:604 ; 4-byte Folded Spill
	s_nop 0
	buffer_store_dword v13, off, s[68:71], 0 offset:608 ; 4-byte Folded Spill
	v_fma_f64 v[8:9], v[46:47], s[14:15], -v[8:9]
	v_add_f64 v[0:1], v[8:9], v[0:1]
	v_fma_f64 v[8:9], v[14:15], s[52:53], v[12:13]
	v_add_f64 v[12:13], v[118:119], v[92:93]
	buffer_store_dword v92, off, s[68:71], 0 offset:372 ; 4-byte Folded Spill
	s_nop 0
	buffer_store_dword v93, off, s[68:71], 0 offset:376 ; 4-byte Folded Spill
	v_add_f64 v[2:3], v[8:9], v[2:3]
	v_fma_f64 v[8:9], v[46:47], s[18:19], -v[140:141]
	v_mul_f64 v[38:39], v[12:13], s[38:39]
	v_mul_f64 v[134:135], v[12:13], s[34:35]
	v_add_f64 v[4:5], v[8:9], v[4:5]
	v_fma_f64 v[8:9], v[14:15], s[22:23], v[144:145]
	v_add_f64 v[6:7], v[8:9], v[6:7]
	v_add_f64 v[136:137], v[118:119], -v[92:93]
	v_mul_f64 v[8:9], v[136:137], s[54:55]
	buffer_store_dword v8, off, s[68:71], 0 offset:556 ; 4-byte Folded Spill
	s_nop 0
	buffer_store_dword v9, off, s[68:71], 0 offset:560 ; 4-byte Folded Spill
	buffer_store_dword v38, off, s[68:71], 0 offset:564 ; 4-byte Folded Spill
	s_nop 0
	buffer_store_dword v39, off, s[68:71], 0 offset:568 ; 4-byte Folded Spill
	s_waitcnt vmcnt(0)
	s_barrier
	v_fma_f64 v[8:9], v[252:253], s[38:39], -v[8:9]
	v_add_f64 v[92:93], v[8:9], v[0:1]
	v_fma_f64 v[0:1], v[22:23], s[54:55], v[38:39]
	v_mul_f64 v[38:39], v[136:137], s[44:45]
	v_add_f64 v[94:95], v[0:1], v[2:3]
	v_fma_f64 v[0:1], v[252:253], s[34:35], -v[38:39]
	v_add_f64 v[100:101], v[0:1], v[4:5]
	v_fma_f64 v[0:1], v[22:23], s[44:45], v[134:135]
	v_add_f64 v[102:103], v[0:1], v[6:7]
	s_and_saveexec_b64 s[36:37], s[2:3]
	s_cbranch_execz .LBB0_25
; %bb.24:
	v_mul_f64 v[0:1], v[244:245], s[30:31]
	v_mul_f64 v[2:3], v[130:131], s[30:31]
	buffer_store_dword v10, off, s[68:71], 0 offset:716 ; 4-byte Folded Spill
	s_nop 0
	buffer_store_dword v11, off, s[68:71], 0 offset:720 ; 4-byte Folded Spill
	buffer_store_dword v55, off, s[68:71], 0 offset:748 ; 4-byte Folded Spill
	s_nop 0
	buffer_store_dword v56, off, s[68:71], 0 offset:752 ; 4-byte Folded Spill
	;; [unrolled: 3-line block ×5, first 2 shown]
	v_mul_f64 v[6:7], v[246:247], s[54:55]
	v_fma_f64 v[8:9], v[128:129], s[26:27], v[0:1]
	v_mul_f64 v[60:61], v[160:161], s[54:55]
	v_fma_f64 v[62:63], v[42:43], s[26:27], -v[2:3]
	buffer_store_dword v112, off, s[68:71], 0 offset:668 ; 4-byte Folded Spill
	s_nop 0
	buffer_store_dword v113, off, s[68:71], 0 offset:672 ; 4-byte Folded Spill
	buffer_store_dword v114, off, s[68:71], 0 offset:660 ; 4-byte Folded Spill
	s_nop 0
	buffer_store_dword v115, off, s[68:71], 0 offset:664 ; 4-byte Folded Spill
	;; [unrolled: 3-line block ×6, first 2 shown]
	v_mul_f64 v[58:59], v[104:105], s[44:45]
	v_fma_f64 v[114:115], v[158:159], s[38:39], v[6:7]
	v_add_f64 v[8:9], v[242:243], v[8:9]
	v_mul_f64 v[120:121], v[166:167], s[44:45]
	v_fma_f64 v[122:123], v[156:157], s[38:39], -v[60:61]
	v_add_f64 v[62:63], v[240:241], v[62:63]
	buffer_store_dword v124, off, s[68:71], 0 offset:636 ; 4-byte Folded Spill
	s_nop 0
	buffer_store_dword v125, off, s[68:71], 0 offset:640 ; 4-byte Folded Spill
	buffer_store_dword v126, off, s[68:71], 0 offset:644 ; 4-byte Folded Spill
	s_nop 0
	buffer_store_dword v127, off, s[68:71], 0 offset:648 ; 4-byte Folded Spill
	;; [unrolled: 3-line block ×4, first 2 shown]
	v_mul_f64 v[55:56], v[236:237], s[50:51]
	v_mul_f64 v[118:119], v[248:249], s[50:51]
	v_fma_f64 v[126:127], v[164:165], s[34:35], v[58:59]
	v_add_f64 v[8:9], v[114:115], v[8:9]
	v_fma_f64 v[32:33], v[162:163], s[34:35], -v[120:121]
	v_fma_f64 v[0:1], v[128:129], s[26:27], -v[0:1]
	v_add_f64 v[62:63], v[122:123], v[62:63]
	v_fma_f64 v[2:3], v[42:43], s[26:27], v[2:3]
	buffer_store_dword v146, off, s[68:71], 0 offset:732 ; 4-byte Folded Spill
	s_nop 0
	buffer_store_dword v147, off, s[68:71], 0 offset:736 ; 4-byte Folded Spill
	v_mul_f64 v[10:11], v[18:19], s[24:25]
	v_mul_f64 v[116:117], v[106:107], s[24:25]
	v_fma_f64 v[146:147], v[234:235], s[4:5], v[55:56]
	v_add_f64 v[8:9], v[126:127], v[8:9]
	v_fma_f64 v[126:127], v[232:233], s[4:5], -v[118:119]
	v_fma_f64 v[6:7], v[158:159], s[38:39], -v[6:7]
	v_add_f64 v[0:1], v[242:243], v[0:1]
	v_add_f64 v[32:33], v[32:33], v[62:63]
	v_fma_f64 v[60:61], v[156:157], s[38:39], v[60:61]
	v_add_f64 v[2:3], v[240:241], v[2:3]
	v_mul_f64 v[4:5], v[53:54], s[52:53]
	v_mul_f64 v[112:113], v[51:52], s[52:53]
	v_fma_f64 v[62:63], v[238:239], s[20:21], v[10:11]
	v_add_f64 v[8:9], v[146:147], v[8:9]
	v_fma_f64 v[146:147], v[250:251], s[20:21], -v[116:117]
	v_fma_f64 v[58:59], v[164:165], s[34:35], -v[58:59]
	v_add_f64 v[0:1], v[6:7], v[0:1]
	v_add_f64 v[6:7], v[126:127], v[32:33]
	v_fma_f64 v[120:121], v[162:163], s[34:35], v[120:121]
	v_add_f64 v[2:3], v[60:61], v[2:3]
	s_mov_b32 s3, 0xbfeec746
	s_mov_b32 s2, s42
	v_mul_f64 v[114:115], v[14:15], s[2:3]
	v_mul_f64 v[122:123], v[20:21], s[2:3]
	v_fma_f64 v[32:33], v[110:111], s[14:15], v[4:5]
	v_add_f64 v[8:9], v[62:63], v[8:9]
	v_fma_f64 v[60:61], v[108:109], s[14:15], -v[112:113]
	v_fma_f64 v[55:56], v[234:235], s[4:5], -v[55:56]
	v_add_f64 v[0:1], v[58:59], v[0:1]
	v_add_f64 v[6:7], v[146:147], v[6:7]
	v_fma_f64 v[58:59], v[232:233], s[4:5], v[118:119]
	v_add_f64 v[2:3], v[120:121], v[2:3]
	s_mov_b32 s57, 0x3fefdd0d
	s_mov_b32 s56, s22
	v_mul_f64 v[124:125], v[22:23], s[56:57]
	v_mul_f64 v[142:143], v[136:137], s[56:57]
	v_fma_f64 v[62:63], v[49:50], s[28:29], v[114:115]
	v_add_f64 v[8:9], v[32:33], v[8:9]
	v_fma_f64 v[10:11], v[238:239], s[20:21], -v[10:11]
	v_fma_f64 v[32:33], v[46:47], s[28:29], -v[122:123]
	v_add_f64 v[0:1], v[55:56], v[0:1]
	v_add_f64 v[6:7], v[60:61], v[6:7]
	v_fma_f64 v[55:56], v[250:251], s[20:21], v[116:117]
	v_add_f64 v[2:3], v[58:59], v[2:3]
	v_fma_f64 v[60:61], v[12:13], s[18:19], v[124:125]
	v_add_f64 v[8:9], v[62:63], v[8:9]
	v_fma_f64 v[58:59], v[252:253], s[18:19], -v[142:143]
	v_fma_f64 v[4:5], v[110:111], s[14:15], -v[4:5]
	v_add_f64 v[0:1], v[10:11], v[0:1]
	v_add_f64 v[6:7], v[32:33], v[6:7]
	v_fma_f64 v[10:11], v[108:109], s[14:15], v[112:113]
	v_add_f64 v[2:3], v[55:56], v[2:3]
	v_mul_f64 v[32:33], v[244:245], s[44:45]
	v_add_f64 v[60:61], v[60:61], v[8:9]
	v_fma_f64 v[8:9], v[49:50], s[28:29], -v[114:115]
	s_mov_b32 s59, 0x3fe9895b
	v_add_f64 v[0:1], v[4:5], v[0:1]
	v_add_f64 v[58:59], v[58:59], v[6:7]
	v_fma_f64 v[4:5], v[46:47], s[28:29], v[122:123]
	v_add_f64 v[2:3], v[10:11], v[2:3]
	v_mul_f64 v[6:7], v[246:247], s[52:53]
	v_fma_f64 v[55:56], v[128:129], s[34:35], v[32:33]
	buffer_store_dword v58, off, s[68:71], 0 offset:756 ; 4-byte Folded Spill
	s_nop 0
	buffer_store_dword v59, off, s[68:71], 0 offset:760 ; 4-byte Folded Spill
	buffer_store_dword v60, off, s[68:71], 0 offset:764 ; 4-byte Folded Spill
	;; [unrolled: 1-line block ×3, first 2 shown]
	v_fma_f64 v[10:11], v[12:13], s[18:19], -v[124:125]
	v_add_f64 v[0:1], v[8:9], v[0:1]
	v_fma_f64 v[8:9], v[252:253], s[18:19], v[142:143]
	v_add_f64 v[2:3], v[4:5], v[2:3]
	v_mul_f64 v[58:59], v[130:131], s[44:45]
	v_mul_f64 v[60:61], v[104:105], s[22:23]
	v_fma_f64 v[62:63], v[158:159], s[14:15], v[6:7]
	v_add_f64 v[55:56], v[242:243], v[55:56]
	s_mov_b32 s58, s24
	v_add_f64 v[10:11], v[10:11], v[0:1]
	v_mul_f64 v[4:5], v[160:161], s[52:53]
	v_add_f64 v[8:9], v[8:9], v[2:3]
	v_fma_f64 v[112:113], v[42:43], s[34:35], -v[58:59]
	v_mul_f64 v[114:115], v[236:237], s[58:59]
	v_fma_f64 v[116:117], v[164:165], s[18:19], v[60:61]
	v_add_f64 v[55:56], v[62:63], v[55:56]
	buffer_store_dword v8, off, s[68:71], 0 offset:788 ; 4-byte Folded Spill
	s_nop 0
	buffer_store_dword v9, off, s[68:71], 0 offset:792 ; 4-byte Folded Spill
	buffer_store_dword v10, off, s[68:71], 0 offset:796 ; 4-byte Folded Spill
	;; [unrolled: 1-line block ×3, first 2 shown]
	v_fma_f64 v[118:119], v[156:157], s[14:15], -v[4:5]
	v_add_f64 v[112:113], v[240:241], v[112:113]
	v_mul_f64 v[0:1], v[18:19], s[40:41]
	v_fma_f64 v[2:3], v[234:235], s[20:21], v[114:115]
	v_add_f64 v[8:9], v[116:117], v[55:56]
	v_mul_f64 v[62:63], v[166:167], s[22:23]
	v_fma_f64 v[32:33], v[128:129], s[34:35], -v[32:33]
	v_mul_f64 v[10:11], v[248:249], s[58:59]
	v_fma_f64 v[6:7], v[158:159], s[14:15], -v[6:7]
	v_add_f64 v[112:113], v[118:119], v[112:113]
	v_mul_f64 v[118:119], v[53:54], s[30:31]
	v_fma_f64 v[120:121], v[238:239], s[38:39], v[0:1]
	v_add_f64 v[2:3], v[2:3], v[8:9]
	v_fma_f64 v[55:56], v[162:163], s[18:19], -v[62:63]
	v_mul_f64 v[8:9], v[14:15], s[50:51]
	v_add_f64 v[32:33], v[242:243], v[32:33]
	v_fma_f64 v[58:59], v[42:43], s[34:35], v[58:59]
	v_fma_f64 v[122:123], v[232:233], s[20:21], -v[10:11]
	v_fma_f64 v[124:125], v[110:111], s[26:27], v[118:119]
	v_fma_f64 v[60:61], v[164:165], s[18:19], -v[60:61]
	v_add_f64 v[2:3], v[120:121], v[2:3]
	v_add_f64 v[55:56], v[55:56], v[112:113]
	v_mul_f64 v[112:113], v[106:107], s[40:41]
	v_add_f64 v[6:7], v[6:7], v[32:33]
	v_fma_f64 v[32:33], v[49:50], s[4:5], v[8:9]
	v_fma_f64 v[4:5], v[156:157], s[14:15], v[4:5]
	v_add_f64 v[58:59], v[240:241], v[58:59]
	v_mul_f64 v[126:127], v[244:245], s[24:25]
	v_add_f64 v[2:3], v[124:125], v[2:3]
	v_mul_f64 v[120:121], v[51:52], s[30:31]
	v_add_f64 v[55:56], v[122:123], v[55:56]
	v_fma_f64 v[122:123], v[250:251], s[38:39], -v[112:113]
	v_add_f64 v[6:7], v[60:61], v[6:7]
	v_fma_f64 v[114:115], v[234:235], s[20:21], -v[114:115]
	v_fma_f64 v[62:63], v[162:163], s[18:19], v[62:63]
	v_add_f64 v[4:5], v[4:5], v[58:59]
	v_add_f64 v[2:3], v[32:33], v[2:3]
	v_mul_f64 v[32:33], v[246:247], s[42:43]
	v_fma_f64 v[58:59], v[128:129], s[20:21], v[126:127]
	v_fma_f64 v[124:125], v[108:109], s[26:27], -v[120:121]
	v_add_f64 v[55:56], v[122:123], v[55:56]
	v_mul_f64 v[60:61], v[20:21], s[50:51]
	v_add_f64 v[6:7], v[114:115], v[6:7]
	v_fma_f64 v[10:11], v[232:233], s[20:21], v[10:11]
	v_add_f64 v[4:5], v[62:63], v[4:5]
	v_mul_f64 v[62:63], v[104:105], s[40:41]
	v_fma_f64 v[114:115], v[158:159], s[28:29], v[32:33]
	v_add_f64 v[58:59], v[242:243], v[58:59]
	v_mul_f64 v[116:117], v[22:23], s[2:3]
	v_add_f64 v[55:56], v[124:125], v[55:56]
	v_fma_f64 v[122:123], v[46:47], s[4:5], -v[60:61]
	v_fma_f64 v[0:1], v[238:239], s[38:39], -v[0:1]
	v_add_f64 v[4:5], v[10:11], v[4:5]
	v_fma_f64 v[10:11], v[164:165], s[38:39], v[62:63]
	v_mul_f64 v[124:125], v[236:237], s[44:45]
	v_add_f64 v[58:59], v[114:115], v[58:59]
	v_fma_f64 v[112:113], v[250:251], s[38:39], v[112:113]
	v_fma_f64 v[118:119], v[110:111], s[26:27], -v[118:119]
	v_add_f64 v[55:56], v[122:123], v[55:56]
	v_fma_f64 v[122:123], v[12:13], s[28:29], v[116:117]
	v_add_f64 v[0:1], v[0:1], v[6:7]
	v_mul_f64 v[6:7], v[136:137], s[2:3]
	v_mul_f64 v[142:143], v[18:19], s[56:57]
	v_add_f64 v[10:11], v[10:11], v[58:59]
	v_fma_f64 v[58:59], v[234:235], s[34:35], v[124:125]
	v_fma_f64 v[120:121], v[108:109], s[26:27], v[120:121]
	v_add_f64 v[4:5], v[112:113], v[4:5]
	v_add_f64 v[114:115], v[122:123], v[2:3]
	v_fma_f64 v[2:3], v[49:50], s[4:5], -v[8:9]
	v_add_f64 v[0:1], v[118:119], v[0:1]
	v_fma_f64 v[8:9], v[252:253], s[28:29], -v[6:7]
	v_fma_f64 v[112:113], v[238:239], s[18:19], v[142:143]
	v_add_f64 v[10:11], v[58:59], v[10:11]
	v_fma_f64 v[60:61], v[46:47], s[4:5], v[60:61]
	v_add_f64 v[4:5], v[120:121], v[4:5]
	v_mul_f64 v[58:59], v[53:54], s[6:7]
	v_fma_f64 v[116:117], v[12:13], s[28:29], -v[116:117]
	v_add_f64 v[0:1], v[2:3], v[0:1]
	v_mul_f64 v[2:3], v[130:131], s[24:25]
	v_fma_f64 v[6:7], v[252:253], s[28:29], v[6:7]
	v_add_f64 v[10:11], v[112:113], v[10:11]
	v_add_f64 v[112:113], v[8:9], v[55:56]
	;; [unrolled: 1-line block ×3, first 2 shown]
	v_mul_f64 v[60:61], v[14:15], s[30:31]
	v_fma_f64 v[120:121], v[110:111], s[4:5], v[58:59]
	v_mul_f64 v[8:9], v[160:161], s[42:43]
	v_fma_f64 v[55:56], v[42:43], s[20:21], -v[2:3]
	buffer_store_dword v112, off, s[68:71], 0 offset:804 ; 4-byte Folded Spill
	s_nop 0
	buffer_store_dword v113, off, s[68:71], 0 offset:808 ; 4-byte Folded Spill
	buffer_store_dword v114, off, s[68:71], 0 offset:812 ; 4-byte Folded Spill
	;; [unrolled: 1-line block ×3, first 2 shown]
	v_add_f64 v[114:115], v[116:117], v[0:1]
	v_add_f64 v[112:113], v[6:7], v[4:5]
	v_fma_f64 v[0:1], v[49:50], s[26:27], v[60:61]
	v_add_f64 v[4:5], v[120:121], v[10:11]
	v_mul_f64 v[6:7], v[166:167], s[40:41]
	v_fma_f64 v[10:11], v[156:157], s[28:29], -v[8:9]
	v_add_f64 v[55:56], v[240:241], v[55:56]
	v_mul_f64 v[146:147], v[51:52], s[6:7]
	buffer_store_dword v112, off, s[68:71], 0 offset:820 ; 4-byte Folded Spill
	s_nop 0
	buffer_store_dword v113, off, s[68:71], 0 offset:824 ; 4-byte Folded Spill
	buffer_store_dword v114, off, s[68:71], 0 offset:828 ; 4-byte Folded Spill
	;; [unrolled: 1-line block ×4, first 2 shown]
	s_nop 0
	buffer_store_dword v25, off, s[68:71], 0 offset:856 ; 4-byte Folded Spill
	v_add_f64 v[0:1], v[0:1], v[4:5]
	v_fma_f64 v[4:5], v[162:163], s[38:39], -v[6:7]
	v_mul_f64 v[24:25], v[20:21], s[30:31]
	v_add_f64 v[10:11], v[10:11], v[55:56]
	v_mul_f64 v[55:56], v[248:249], s[44:45]
	buffer_store_dword v40, off, s[68:71], 0 offset:860 ; 4-byte Folded Spill
	s_nop 0
	buffer_store_dword v41, off, s[68:71], 0 offset:864 ; 4-byte Folded Spill
	v_mul_f64 v[40:41], v[22:23], s[52:53]
	v_fma_f64 v[32:33], v[158:159], s[28:29], -v[32:33]
	v_fma_f64 v[2:3], v[42:43], s[20:21], v[2:3]
	v_fma_f64 v[8:9], v[156:157], s[28:29], v[8:9]
	;; [unrolled: 1-line block ×3, first 2 shown]
	v_add_f64 v[4:5], v[4:5], v[10:11]
	v_fma_f64 v[10:11], v[232:233], s[34:35], -v[55:56]
	v_mov_b32_e32 v122, v254
	v_mov_b32_e32 v123, v255
	;; [unrolled: 1-line block ×3, first 2 shown]
	v_add_f64 v[2:3], v[240:241], v[2:3]
	v_mov_b32_e32 v119, v37
	v_mov_b32_e32 v116, v66
	;; [unrolled: 1-line block ×3, first 2 shown]
	v_add_f64 v[4:5], v[10:11], v[4:5]
	v_mul_f64 v[10:11], v[106:107], s[56:57]
	v_mov_b32_e32 v118, v36
	v_mov_b32_e32 v66, v44
	v_add_f64 v[2:3], v[8:9], v[2:3]
	v_mul_f64 v[8:9], v[244:245], s[2:3]
	v_mul_f64 v[44:45], v[22:23], s[50:51]
	v_fma_f64 v[120:121], v[250:251], s[18:19], -v[10:11]
	v_fma_f64 v[10:11], v[250:251], s[18:19], v[10:11]
	v_add_f64 v[2:3], v[6:7], v[2:3]
	v_mul_f64 v[6:7], v[246:247], s[48:49]
	v_add_f64 v[4:5], v[120:121], v[4:5]
	v_fma_f64 v[120:121], v[108:109], s[4:5], -v[146:147]
	v_add_f64 v[4:5], v[120:121], v[4:5]
	v_fma_f64 v[120:121], v[46:47], s[26:27], -v[24:25]
	v_fma_f64 v[24:25], v[46:47], s[26:27], v[24:25]
	v_add_f64 v[4:5], v[120:121], v[4:5]
	v_fma_f64 v[120:121], v[12:13], s[14:15], v[40:41]
	v_fma_f64 v[40:41], v[12:13], s[14:15], -v[40:41]
	v_add_f64 v[114:115], v[120:121], v[0:1]
	v_mul_f64 v[0:1], v[136:137], s[52:53]
	v_fma_f64 v[120:121], v[252:253], s[14:15], -v[0:1]
	v_fma_f64 v[0:1], v[252:253], s[14:15], v[0:1]
	v_add_f64 v[112:113], v[120:121], v[4:5]
	v_fma_f64 v[4:5], v[128:129], s[20:21], -v[126:127]
	buffer_store_dword v112, off, s[68:71], 0 offset:836 ; 4-byte Folded Spill
	s_nop 0
	buffer_store_dword v113, off, s[68:71], 0 offset:840 ; 4-byte Folded Spill
	buffer_store_dword v114, off, s[68:71], 0 offset:844 ; 4-byte Folded Spill
	;; [unrolled: 1-line block ×3, first 2 shown]
	v_add_f64 v[4:5], v[242:243], v[4:5]
	buffer_store_dword v26, off, s[68:71], 0 offset:868 ; 4-byte Folded Spill
	s_nop 0
	buffer_store_dword v27, off, s[68:71], 0 offset:872 ; 4-byte Folded Spill
	buffer_store_dword v28, off, s[68:71], 0 offset:876 ; 4-byte Folded Spill
	s_nop 0
	buffer_store_dword v29, off, s[68:71], 0 offset:880 ; 4-byte Folded Spill
	v_mov_b32_e32 v121, v35
	v_mov_b32_e32 v120, v34
	;; [unrolled: 1-line block ×5, first 2 shown]
	v_add_f64 v[4:5], v[32:33], v[4:5]
	v_fma_f64 v[32:33], v[164:165], s[38:39], -v[62:63]
	v_mov_b32_e32 v112, v64
	v_mov_b32_e32 v65, v17
	;; [unrolled: 1-line block ×3, first 2 shown]
	v_mul_f64 v[16:17], v[136:137], s[50:51]
	v_add_f64 v[4:5], v[32:33], v[4:5]
	v_fma_f64 v[32:33], v[234:235], s[34:35], -v[124:125]
	v_add_f64 v[4:5], v[32:33], v[4:5]
	v_fma_f64 v[32:33], v[238:239], s[18:19], -v[142:143]
	;; [unrolled: 2-line block ×3, first 2 shown]
	v_fma_f64 v[58:59], v[49:50], s[26:27], -v[60:61]
	v_fma_f64 v[60:61], v[108:109], s[4:5], v[146:147]
	v_add_f64 v[4:5], v[32:33], v[4:5]
	v_fma_f64 v[32:33], v[232:233], s[34:35], v[55:56]
	v_fma_f64 v[55:56], v[128:129], s[28:29], v[8:9]
	v_fma_f64 v[8:9], v[128:129], s[28:29], -v[8:9]
	v_add_f64 v[4:5], v[58:59], v[4:5]
	v_add_f64 v[2:3], v[32:33], v[2:3]
	v_fma_f64 v[32:33], v[158:159], s[34:35], v[6:7]
	v_add_f64 v[55:56], v[242:243], v[55:56]
	v_mul_f64 v[58:59], v[104:105], s[50:51]
	v_fma_f64 v[6:7], v[158:159], s[34:35], -v[6:7]
	v_add_f64 v[8:9], v[242:243], v[8:9]
	v_add_f64 v[126:127], v[40:41], v[4:5]
	;; [unrolled: 1-line block ×3, first 2 shown]
	v_mul_f64 v[10:11], v[236:237], s[16:17]
	v_add_f64 v[32:33], v[32:33], v[55:56]
	v_fma_f64 v[55:56], v[164:165], s[4:5], v[58:59]
	v_mul_f64 v[40:41], v[160:161], s[48:49]
	v_add_f64 v[6:7], v[6:7], v[8:9]
	v_fma_f64 v[8:9], v[164:165], s[4:5], -v[58:59]
	v_mul_f64 v[58:59], v[244:245], s[22:23]
	v_add_f64 v[2:3], v[60:61], v[2:3]
	v_fma_f64 v[60:61], v[234:235], s[14:15], v[10:11]
	v_add_f64 v[32:33], v[55:56], v[32:33]
	v_mul_f64 v[55:56], v[18:19], s[30:31]
	v_add_f64 v[6:7], v[8:9], v[6:7]
	v_fma_f64 v[8:9], v[234:235], s[14:15], -v[10:11]
	v_add_f64 v[2:3], v[24:25], v[2:3]
	v_mul_f64 v[24:25], v[53:54], s[56:57]
	v_add_f64 v[32:33], v[60:61], v[32:33]
	v_fma_f64 v[60:61], v[238:239], s[26:27], v[55:56]
	v_fma_f64 v[10:11], v[238:239], s[26:27], -v[55:56]
	v_add_f64 v[6:7], v[8:9], v[6:7]
	v_add_f64 v[124:125], v[0:1], v[2:3]
	v_mul_f64 v[0:1], v[14:15], s[40:41]
	v_fma_f64 v[2:3], v[110:111], s[18:19], v[24:25]
	v_fma_f64 v[8:9], v[156:157], s[34:35], v[40:41]
	v_add_f64 v[4:5], v[60:61], v[32:33]
	v_fma_f64 v[60:61], v[156:157], s[34:35], -v[40:41]
	v_fma_f64 v[24:25], v[110:111], s[18:19], -v[24:25]
	v_add_f64 v[6:7], v[10:11], v[6:7]
	v_fma_f64 v[32:33], v[49:50], s[38:39], v[0:1]
	v_fma_f64 v[0:1], v[49:50], s[38:39], -v[0:1]
	v_add_f64 v[2:3], v[2:3], v[4:5]
	v_mul_f64 v[4:5], v[130:131], s[2:3]
	v_add_f64 v[6:7], v[24:25], v[6:7]
	v_mul_f64 v[24:25], v[22:23], s[24:25]
	v_add_f64 v[2:3], v[32:33], v[2:3]
	v_fma_f64 v[32:33], v[42:43], s[28:29], -v[4:5]
	v_fma_f64 v[4:5], v[42:43], s[28:29], v[4:5]
	v_add_f64 v[6:7], v[0:1], v[6:7]
	v_add_f64 v[32:33], v[240:241], v[32:33]
	;; [unrolled: 1-line block ×4, first 2 shown]
	v_mul_f64 v[60:61], v[166:167], s[50:51]
	v_add_f64 v[4:5], v[8:9], v[4:5]
	v_fma_f64 v[62:63], v[162:163], s[4:5], -v[60:61]
	v_fma_f64 v[8:9], v[162:163], s[4:5], v[60:61]
	v_mul_f64 v[60:61], v[53:54], s[44:45]
	v_add_f64 v[32:33], v[62:63], v[32:33]
	v_mul_f64 v[62:63], v[248:249], s[16:17]
	v_add_f64 v[4:5], v[8:9], v[4:5]
	v_mul_f64 v[8:9], v[51:52], s[56:57]
	v_fma_f64 v[142:143], v[232:233], s[14:15], -v[62:63]
	v_fma_f64 v[40:41], v[232:233], s[14:15], v[62:63]
	v_fma_f64 v[10:11], v[108:109], s[18:19], -v[8:9]
	v_fma_f64 v[8:9], v[108:109], s[18:19], v[8:9]
	v_mul_f64 v[62:63], v[14:15], s[58:59]
	v_add_f64 v[32:33], v[142:143], v[32:33]
	v_mul_f64 v[142:143], v[106:107], s[30:31]
	v_add_f64 v[4:5], v[40:41], v[4:5]
	v_mul_f64 v[40:41], v[20:21], s[40:41]
	v_fma_f64 v[146:147], v[250:251], s[26:27], -v[142:143]
	v_fma_f64 v[55:56], v[250:251], s[26:27], v[142:143]
	v_mul_f64 v[142:143], v[130:131], s[22:23]
	v_add_f64 v[32:33], v[146:147], v[32:33]
	v_add_f64 v[4:5], v[55:56], v[4:5]
	v_mul_f64 v[55:56], v[136:137], s[24:25]
	v_mul_f64 v[146:147], v[160:161], s[30:31]
	v_add_f64 v[10:11], v[10:11], v[32:33]
	v_fma_f64 v[32:33], v[46:47], s[38:39], -v[40:41]
	v_fma_f64 v[40:41], v[46:47], s[38:39], v[40:41]
	v_add_f64 v[4:5], v[8:9], v[4:5]
	v_fma_f64 v[8:9], v[252:253], s[20:21], -v[55:56]
	v_fma_f64 v[26:27], v[156:157], s[26:27], -v[146:147]
	v_add_f64 v[10:11], v[32:33], v[10:11]
	v_fma_f64 v[32:33], v[12:13], s[20:21], v[24:25]
	v_fma_f64 v[24:25], v[12:13], s[20:21], -v[24:25]
	v_add_f64 v[4:5], v[40:41], v[4:5]
	v_mul_f64 v[40:41], v[246:247], s[30:31]
	v_add_f64 v[0:1], v[8:9], v[10:11]
	v_fma_f64 v[8:9], v[128:129], s[18:19], v[58:59]
	v_add_f64 v[2:3], v[32:33], v[2:3]
	v_fma_f64 v[32:33], v[252:253], s[20:21], v[55:56]
	v_add_f64 v[6:7], v[24:25], v[6:7]
	v_mul_f64 v[24:25], v[104:105], s[42:43]
	v_fma_f64 v[10:11], v[158:159], s[26:27], v[40:41]
	v_mul_f64 v[55:56], v[236:237], s[54:55]
	v_fma_f64 v[40:41], v[158:159], s[26:27], -v[40:41]
	v_add_f64 v[8:9], v[242:243], v[8:9]
	v_add_f64 v[4:5], v[32:33], v[4:5]
	v_fma_f64 v[32:33], v[164:165], s[28:29], v[24:25]
	v_fma_f64 v[24:25], v[164:165], s[28:29], -v[24:25]
	v_add_f64 v[8:9], v[10:11], v[8:9]
	v_fma_f64 v[10:11], v[234:235], s[38:39], v[55:56]
	v_add_f64 v[8:9], v[32:33], v[8:9]
	v_mul_f64 v[32:33], v[18:19], s[16:17]
	v_add_f64 v[8:9], v[10:11], v[8:9]
	v_fma_f64 v[10:11], v[238:239], s[14:15], v[32:33]
	v_fma_f64 v[32:33], v[238:239], s[14:15], -v[32:33]
	v_add_f64 v[8:9], v[10:11], v[8:9]
	v_fma_f64 v[10:11], v[110:111], s[34:35], v[60:61]
	v_add_f64 v[8:9], v[10:11], v[8:9]
	v_fma_f64 v[10:11], v[49:50], s[20:21], v[62:63]
	v_add_f64 v[8:9], v[10:11], v[8:9]
	v_fma_f64 v[10:11], v[42:43], s[18:19], -v[142:143]
	v_add_f64 v[10:11], v[240:241], v[10:11]
	v_add_f64 v[10:11], v[26:27], v[10:11]
	v_mul_f64 v[26:27], v[166:167], s[42:43]
	v_fma_f64 v[28:29], v[162:163], s[28:29], -v[26:27]
	v_fma_f64 v[26:27], v[162:163], s[28:29], v[26:27]
	v_add_f64 v[10:11], v[28:29], v[10:11]
	v_mul_f64 v[28:29], v[248:249], s[54:55]
	v_fma_f64 v[34:35], v[232:233], s[38:39], -v[28:29]
	v_fma_f64 v[28:29], v[232:233], s[38:39], v[28:29]
	v_add_f64 v[10:11], v[34:35], v[10:11]
	v_mul_f64 v[34:35], v[106:107], s[16:17]
	v_mul_f64 v[106:107], v[106:107], s[2:3]
	v_fma_f64 v[138:139], v[250:251], s[14:15], -v[34:35]
	v_add_f64 v[10:11], v[138:139], v[10:11]
	v_mul_f64 v[138:139], v[51:52], s[44:45]
	v_mul_f64 v[51:52], v[51:52], s[24:25]
	v_fma_f64 v[254:255], v[108:109], s[34:35], -v[138:139]
	;; [unrolled: 4-line block ×3, first 2 shown]
	v_add_f64 v[36:37], v[36:37], v[10:11]
	v_fma_f64 v[10:11], v[12:13], s[4:5], v[44:45]
	v_fma_f64 v[44:45], v[12:13], s[4:5], -v[44:45]
	v_add_f64 v[10:11], v[10:11], v[8:9]
	v_fma_f64 v[8:9], v[252:253], s[4:5], -v[16:17]
	v_fma_f64 v[16:17], v[252:253], s[4:5], v[16:17]
	v_add_f64 v[8:9], v[8:9], v[36:37]
	v_fma_f64 v[36:37], v[128:129], s[18:19], -v[58:59]
	v_add_f64 v[36:37], v[242:243], v[36:37]
	v_add_f64 v[36:37], v[40:41], v[36:37]
	;; [unrolled: 1-line block ×3, first 2 shown]
	v_fma_f64 v[36:37], v[234:235], s[38:39], -v[55:56]
	v_add_f64 v[24:25], v[36:37], v[24:25]
	v_fma_f64 v[36:37], v[156:157], s[26:27], v[146:147]
	v_mul_f64 v[146:147], v[108:109], s[28:29]
	v_add_f64 v[24:25], v[32:33], v[24:25]
	v_fma_f64 v[32:33], v[110:111], s[34:35], -v[60:61]
	v_add_f64 v[24:25], v[32:33], v[24:25]
	v_fma_f64 v[32:33], v[49:50], s[20:21], -v[62:63]
	v_mul_f64 v[62:63], v[42:43], s[4:5]
	v_add_f64 v[24:25], v[32:33], v[24:25]
	v_fma_f64 v[32:33], v[42:43], s[18:19], v[142:143]
	v_mul_f64 v[142:143], v[156:157], s[18:19]
	v_add_f64 v[32:33], v[240:241], v[32:33]
	v_add_f64 v[32:33], v[36:37], v[32:33]
	;; [unrolled: 1-line block ×3, first 2 shown]
	buffer_load_dword v32, off, s[68:71], 0 offset:572 ; 4-byte Folded Reload
	buffer_load_dword v33, off, s[68:71], 0 offset:576 ; 4-byte Folded Reload
	v_add_f64 v[26:27], v[28:29], v[26:27]
	v_fma_f64 v[28:29], v[250:251], s[14:15], v[34:35]
	buffer_load_dword v34, off, s[68:71], 0 offset:500 ; 4-byte Folded Reload
	buffer_load_dword v35, off, s[68:71], 0 offset:504 ; 4-byte Folded Reload
	;; [unrolled: 1-line block ×4, first 2 shown]
	v_add_f64 v[26:27], v[28:29], v[26:27]
	v_fma_f64 v[28:29], v[108:109], s[34:35], v[138:139]
	v_mul_f64 v[138:139], v[244:245], s[6:7]
	v_add_f64 v[26:27], v[28:29], v[26:27]
	v_fma_f64 v[28:29], v[46:47], s[20:21], v[254:255]
	v_mul_f64 v[254:255], v[53:54], s[42:43]
	v_add_f64 v[26:27], v[28:29], v[26:27]
	v_mul_f64 v[28:29], v[104:105], s[46:47]
	s_waitcnt vmcnt(4)
	v_add_f64 v[28:29], v[32:33], -v[28:29]
	v_mul_f64 v[32:33], v[244:245], s[16:17]
	s_waitcnt vmcnt(2)
	v_add_f64 v[32:33], v[34:35], -v[32:33]
	v_mul_f64 v[34:35], v[246:247], s[24:25]
	v_add_f64 v[32:33], v[242:243], v[32:33]
	s_waitcnt vmcnt(0)
	v_add_f64 v[34:35], v[36:37], -v[34:35]
	buffer_load_dword v36, off, s[68:71], 0 offset:484 ; 4-byte Folded Reload
	buffer_load_dword v37, off, s[68:71], 0 offset:488 ; 4-byte Folded Reload
	;; [unrolled: 1-line block ×10, first 2 shown]
	v_add_f64 v[32:33], v[34:35], v[32:33]
	v_mul_f64 v[34:35], v[42:43], s[14:15]
	v_add_f64 v[28:29], v[28:29], v[32:33]
	v_mul_f64 v[32:33], v[250:251], s[4:5]
	s_waitcnt vmcnt(8)
	v_add_f64 v[34:35], v[34:35], v[36:37]
	v_mul_f64 v[36:37], v[156:157], s[20:21]
	v_add_f64 v[34:35], v[240:241], v[34:35]
	s_waitcnt vmcnt(6)
	v_add_f64 v[36:37], v[36:37], v[40:41]
	v_mul_f64 v[40:41], v[162:163], s[26:27]
	v_add_f64 v[34:35], v[36:37], v[34:35]
	v_mul_f64 v[36:37], v[232:233], s[28:29]
	s_waitcnt vmcnt(4)
	v_add_f64 v[40:41], v[40:41], v[55:56]
	v_mul_f64 v[55:56], v[236:237], s[42:43]
	s_waitcnt vmcnt(0)
	v_add_f64 v[36:37], v[36:37], v[60:61]
	buffer_load_dword v60, off, s[68:71], 0 offset:628 ; 4-byte Folded Reload
	buffer_load_dword v61, off, s[68:71], 0 offset:632 ; 4-byte Folded Reload
	v_add_f64 v[55:56], v[58:59], -v[55:56]
	v_mul_f64 v[58:59], v[18:19], s[50:51]
	v_add_f64 v[34:35], v[40:41], v[34:35]
	v_mul_f64 v[40:41], v[53:54], s[40:41]
	v_mul_f64 v[53:54], v[53:54], s[24:25]
	v_add_f64 v[28:29], v[55:56], v[28:29]
	v_mul_f64 v[55:56], v[108:109], s[38:39]
	v_add_f64 v[34:35], v[36:37], v[34:35]
	v_mul_f64 v[36:37], v[14:15], s[22:23]
	v_add_f64 v[40:41], v[132:133], -v[40:41]
	v_mul_f64 v[132:133], v[246:247], s[22:23]
	v_add_f64 v[30:31], v[55:56], v[30:31]
	v_mul_f64 v[55:56], v[162:163], s[20:21]
	v_add_f64 v[36:37], v[144:145], -v[36:37]
	v_mul_f64 v[144:145], v[104:105], s[24:25]
	v_mul_f64 v[104:105], v[104:105], s[16:17]
	s_waitcnt vmcnt(0)
	v_add_f64 v[58:59], v[60:61], -v[58:59]
	buffer_load_dword v60, off, s[68:71], 0 offset:620 ; 4-byte Folded Reload
	buffer_load_dword v61, off, s[68:71], 0 offset:624 ; 4-byte Folded Reload
	v_add_f64 v[28:29], v[58:59], v[28:29]
	v_mul_f64 v[58:59], v[46:47], s[18:19]
	v_add_f64 v[28:29], v[40:41], v[28:29]
	v_add_f64 v[58:59], v[58:59], v[140:141]
	v_mul_f64 v[140:141], v[18:19], s[48:49]
	v_mul_f64 v[40:41], v[232:233], s[26:27]
	;; [unrolled: 1-line block ×3, first 2 shown]
	v_add_f64 v[36:37], v[36:37], v[28:29]
	v_add_f64 v[28:29], v[16:17], v[26:27]
	v_mul_f64 v[16:17], v[14:15], s[52:53]
	v_mul_f64 v[14:15], v[14:15], s[44:45]
	;; [unrolled: 1-line block ×3, first 2 shown]
	s_waitcnt vmcnt(0)
	v_add_f64 v[32:33], v[32:33], v[60:61]
	v_mul_f64 v[60:61], v[252:253], s[34:35]
	v_add_f64 v[32:33], v[32:33], v[34:35]
	v_add_f64 v[38:39], v[60:61], v[38:39]
	v_mul_f64 v[34:35], v[22:23], s[44:45]
	v_add_f64 v[30:31], v[30:31], v[32:33]
	v_mul_f64 v[32:33], v[236:237], s[30:31]
	v_add_f64 v[34:35], v[134:135], -v[34:35]
	v_mul_f64 v[134:135], v[250:251], s[34:35]
	v_add_f64 v[58:59], v[58:59], v[30:31]
	v_add_f64 v[30:31], v[44:45], v[24:25]
	v_add_f64 v[60:61], v[34:35], v[36:37]
	v_mul_f64 v[36:37], v[244:245], s[40:41]
	v_mul_f64 v[24:25], v[46:47], s[14:15]
	;; [unrolled: 1-line block ×4, first 2 shown]
	v_add_f64 v[58:59], v[38:39], v[58:59]
	buffer_load_dword v38, off, s[68:71], 0 offset:388 ; 4-byte Folded Reload
	buffer_load_dword v39, off, s[68:71], 0 offset:392 ; 4-byte Folded Reload
	;; [unrolled: 1-line block ×4, first 2 shown]
	v_fma_f64 v[244:245], v[128:129], s[38:39], v[36:37]
	v_fma_f64 v[36:37], v[128:129], s[38:39], -v[36:37]
	v_mul_f64 v[128:129], v[160:161], s[6:7]
	v_add_f64 v[244:245], v[242:243], v[244:245]
	v_add_f64 v[36:37], v[242:243], v[36:37]
	s_waitcnt vmcnt(2)
	v_add_f64 v[38:39], v[38:39], -v[138:139]
	s_waitcnt vmcnt(0)
	v_add_f64 v[16:17], v[44:45], -v[16:17]
	buffer_load_dword v44, off, s[68:71], 0 offset:580 ; 4-byte Folded Reload
	buffer_load_dword v45, off, s[68:71], 0 offset:584 ; 4-byte Folded Reload
	buffer_load_dword v138, off, s[68:71], 0 offset:532 ; 4-byte Folded Reload
	buffer_load_dword v139, off, s[68:71], 0 offset:536 ; 4-byte Folded Reload
	v_add_f64 v[38:39], v[242:243], v[38:39]
	s_waitcnt vmcnt(2)
	v_add_f64 v[44:45], v[44:45], -v[254:255]
	s_waitcnt vmcnt(0)
	v_add_f64 v[138:139], v[138:139], -v[140:141]
	buffer_load_dword v140, off, s[68:71], 0 offset:380 ; 4-byte Folded Reload
	buffer_load_dword v141, off, s[68:71], 0 offset:384 ; 4-byte Folded Reload
	v_add_f64 v[254:255], v[240:241], v[66:67]
	s_waitcnt vmcnt(0)
	v_add_f64 v[62:63], v[62:63], v[140:141]
	buffer_load_dword v140, off, s[68:71], 0 offset:444 ; 4-byte Folded Reload
	buffer_load_dword v141, off, s[68:71], 0 offset:448 ; 4-byte Folded Reload
	v_add_f64 v[62:63], v[240:241], v[62:63]
	s_waitcnt vmcnt(0)
	v_add_f64 v[132:133], v[140:141], -v[132:133]
	v_mul_f64 v[140:141], v[246:247], s[6:7]
	buffer_load_dword v246, off, s[68:71], 0 offset:492 ; 4-byte Folded Reload
	buffer_load_dword v247, off, s[68:71], 0 offset:496 ; 4-byte Folded Reload
	v_add_f64 v[38:39], v[132:133], v[38:39]
	s_waitcnt vmcnt(0)
	v_add_f64 v[32:33], v[246:247], -v[32:33]
	buffer_load_dword v246, off, s[68:71], 0 offset:468 ; 4-byte Folded Reload
	buffer_load_dword v247, off, s[68:71], 0 offset:472 ; 4-byte Folded Reload
	s_waitcnt vmcnt(0)
	v_add_f64 v[144:145], v[246:247], -v[144:145]
	buffer_load_dword v246, off, s[68:71], 0 offset:396 ; 4-byte Folded Reload
	buffer_load_dword v247, off, s[68:71], 0 offset:400 ; 4-byte Folded Reload
	;; [unrolled: 1-line block ×4, first 2 shown]
	v_add_f64 v[38:39], v[144:145], v[38:39]
	v_add_f64 v[32:33], v[32:33], v[38:39]
	;; [unrolled: 1-line block ×5, first 2 shown]
	s_waitcnt vmcnt(2)
	v_add_f64 v[142:143], v[142:143], v[246:247]
	s_waitcnt vmcnt(0)
	v_add_f64 v[55:56], v[55:56], v[132:133]
	buffer_load_dword v132, off, s[68:71], 0 offset:780 ; 4-byte Folded Reload
	buffer_load_dword v133, off, s[68:71], 0 offset:784 ; 4-byte Folded Reload
	;; [unrolled: 1-line block ×4, first 2 shown]
	v_fma_f64 v[246:247], v[158:159], s[4:5], v[140:141]
	v_add_f64 v[62:63], v[142:143], v[62:63]
	v_mul_f64 v[142:143], v[236:237], s[22:23]
	v_fma_f64 v[236:237], v[164:165], s[14:15], v[104:105]
	v_fma_f64 v[104:105], v[164:165], s[14:15], -v[104:105]
	v_add_f64 v[244:245], v[246:247], v[244:245]
	v_add_f64 v[55:56], v[55:56], v[62:63]
	v_fma_f64 v[62:63], v[234:235], s[18:19], v[142:143]
	v_add_f64 v[236:237], v[236:237], v[244:245]
	v_add_f64 v[62:63], v[62:63], v[236:237]
	s_waitcnt vmcnt(2)
	v_add_f64 v[132:133], v[242:243], v[132:133]
	s_waitcnt vmcnt(0)
	v_add_f64 v[40:41], v[40:41], v[66:67]
	buffer_load_dword v66, off, s[68:71], 0 offset:772 ; 4-byte Folded Reload
	buffer_load_dword v67, off, s[68:71], 0 offset:776 ; 4-byte Folded Reload
	v_add_f64 v[40:41], v[40:41], v[55:56]
	v_fma_f64 v[55:56], v[238:239], s[28:29], v[18:19]
	v_fma_f64 v[18:19], v[238:239], s[28:29], -v[18:19]
	v_add_f64 v[55:56], v[55:56], v[62:63]
	s_waitcnt vmcnt(0)
	v_add_f64 v[132:133], v[132:133], v[66:67]
	buffer_load_dword v66, off, s[68:71], 0 offset:748 ; 4-byte Folded Reload
	buffer_load_dword v67, off, s[68:71], 0 offset:752 ; 4-byte Folded Reload
	;; [unrolled: 1-line block ×4, first 2 shown]
	s_waitcnt vmcnt(2)
	v_add_f64 v[144:145], v[254:255], v[66:67]
	s_waitcnt vmcnt(0)
	v_add_f64 v[38:39], v[134:135], v[38:39]
	buffer_load_dword v66, off, s[68:71], 0 offset:740 ; 4-byte Folded Reload
	buffer_load_dword v67, off, s[68:71], 0 offset:744 ; 4-byte Folded Reload
	v_add_f64 v[134:135], v[144:145], v[64:65]
	buffer_load_dword v64, off, s[68:71], 0 offset:508 ; 4-byte Folded Reload
	buffer_load_dword v65, off, s[68:71], 0 offset:512 ; 4-byte Folded Reload
	v_add_f64 v[38:39], v[38:39], v[40:41]
	v_fma_f64 v[40:41], v[110:111], s[20:21], v[53:54]
	v_fma_f64 v[53:54], v[110:111], s[20:21], -v[53:54]
	v_add_f64 v[40:41], v[40:41], v[55:56]
	s_waitcnt vmcnt(2)
	v_add_f64 v[132:133], v[132:133], v[66:67]
	s_waitcnt vmcnt(0)
	v_add_f64 v[138:139], v[146:147], v[64:65]
	buffer_load_dword v64, off, s[68:71], 0 offset:716 ; 4-byte Folded Reload
	buffer_load_dword v65, off, s[68:71], 0 offset:720 ; 4-byte Folded Reload
	buffer_load_dword v44, off, s[68:71], 0 offset:540 ; 4-byte Folded Reload
	buffer_load_dword v45, off, s[68:71], 0 offset:544 ; 4-byte Folded Reload
	buffer_load_dword v62, off, s[68:71], 0 offset:708 ; 4-byte Folded Reload
	buffer_load_dword v63, off, s[68:71], 0 offset:712 ; 4-byte Folded Reload
	buffer_load_dword v55, off, s[68:71], 0 offset:564 ; 4-byte Folded Reload
	buffer_load_dword v56, off, s[68:71], 0 offset:568 ; 4-byte Folded Reload
	buffer_load_dword v32, off, s[68:71], 0 offset:724 ; 4-byte Folded Reload
	buffer_load_dword v33, off, s[68:71], 0 offset:728 ; 4-byte Folded Reload
	v_add_f64 v[132:133], v[132:133], v[112:113]
	v_add_f64 v[38:39], v[138:139], v[38:39]
	s_waitcnt vmcnt(8)
	v_add_f64 v[134:135], v[134:135], v[64:65]
	s_waitcnt vmcnt(6)
	v_add_f64 v[24:25], v[24:25], v[44:45]
	v_add_f64 v[44:45], v[132:133], v[114:115]
	s_waitcnt vmcnt(2)
	v_add_f64 v[34:35], v[55:56], -v[34:35]
	buffer_load_dword v55, off, s[68:71], 0 offset:556 ; 4-byte Folded Reload
	buffer_load_dword v56, off, s[68:71], 0 offset:560 ; 4-byte Folded Reload
	v_fma_f64 v[132:133], v[49:50], s[34:35], v[14:15]
	v_fma_f64 v[14:15], v[49:50], s[34:35], -v[14:15]
	v_fma_f64 v[49:50], v[46:47], s[34:35], v[20:21]
	v_add_f64 v[62:63], v[134:135], v[62:63]
	v_add_f64 v[24:25], v[24:25], v[38:39]
	s_waitcnt vmcnt(2)
	v_add_f64 v[32:33], v[44:45], v[32:33]
	v_fma_f64 v[38:39], v[12:13], s[26:27], v[22:23]
	v_fma_f64 v[22:23], v[12:13], s[26:27], -v[22:23]
	v_add_f64 v[40:41], v[132:133], v[40:41]
	v_mul_f64 v[134:135], v[166:167], s[16:17]
	v_fma_f64 v[20:21], v[46:47], s[34:35], -v[20:21]
	v_add_f64 v[44:45], v[62:63], v[116:117]
	buffer_load_dword v62, off, s[68:71], 0 offset:692 ; 4-byte Folded Reload
	buffer_load_dword v63, off, s[68:71], 0 offset:696 ; 4-byte Folded Reload
	s_waitcnt vmcnt(2)
	v_add_f64 v[26:27], v[26:27], v[55:56]
	v_mul_f64 v[55:56], v[136:137], s[30:31]
	v_fma_f64 v[136:137], v[156:157], s[4:5], v[128:129]
	v_fma_f64 v[128:129], v[156:157], s[4:5], -v[128:129]
	v_fma_f64 v[46:47], v[252:253], s[26:27], v[55:56]
	s_waitcnt vmcnt(0)
	v_add_f64 v[32:33], v[32:33], v[62:63]
	buffer_load_dword v62, off, s[68:71], 0 offset:668 ; 4-byte Folded Reload
	buffer_load_dword v63, off, s[68:71], 0 offset:672 ; 4-byte Folded Reload
	;; [unrolled: 1-line block ×4, first 2 shown]
	s_waitcnt vmcnt(2)
	v_add_f64 v[44:45], v[44:45], v[62:63]
	s_waitcnt vmcnt(0)
	v_add_f64 v[32:33], v[32:33], v[64:65]
	buffer_load_dword v64, off, s[68:71], 0 offset:660 ; 4-byte Folded Reload
	buffer_load_dword v65, off, s[68:71], 0 offset:664 ; 4-byte Folded Reload
	v_mul_f64 v[62:63], v[130:131], s[40:41]
	v_mul_f64 v[130:131], v[248:249], s[22:23]
	v_fma_f64 v[132:133], v[42:43], s[38:39], v[62:63]
	v_fma_f64 v[42:43], v[42:43], s[38:39], -v[62:63]
	v_fma_f64 v[62:63], v[158:159], s[4:5], -v[140:141]
	v_add_f64 v[132:133], v[240:241], v[132:133]
	v_add_f64 v[42:43], v[240:241], v[42:43]
	;; [unrolled: 1-line block ×3, first 2 shown]
	v_fma_f64 v[62:63], v[162:163], s[14:15], v[134:135]
	v_fma_f64 v[134:135], v[162:163], s[14:15], -v[134:135]
	v_add_f64 v[132:133], v[136:137], v[132:133]
	v_add_f64 v[42:43], v[128:129], v[42:43]
	v_fma_f64 v[128:129], v[234:235], s[18:19], -v[142:143]
	v_add_f64 v[36:37], v[104:105], v[36:37]
	v_fma_f64 v[104:105], v[232:233], s[18:19], v[130:131]
	v_fma_f64 v[130:131], v[232:233], s[18:19], -v[130:131]
	v_add_f64 v[62:63], v[62:63], v[132:133]
	v_add_f64 v[42:43], v[134:135], v[42:43]
	;; [unrolled: 1-line block ×3, first 2 shown]
	v_fma_f64 v[128:129], v[250:251], s[28:29], v[106:107]
	v_add_f64 v[62:63], v[104:105], v[62:63]
	v_fma_f64 v[104:105], v[250:251], s[28:29], -v[106:107]
	v_add_f64 v[42:43], v[130:131], v[42:43]
	v_add_f64 v[18:19], v[18:19], v[36:37]
	v_fma_f64 v[36:37], v[108:109], s[20:21], v[51:52]
	v_fma_f64 v[51:52], v[108:109], s[20:21], -v[51:52]
	v_add_f64 v[62:63], v[128:129], v[62:63]
	v_add_f64 v[42:43], v[104:105], v[42:43]
	v_add_f64 v[18:19], v[53:54], v[18:19]
	v_add_f64 v[36:37], v[36:37], v[62:63]
	v_add_f64 v[42:43], v[51:52], v[42:43]
	v_add_f64 v[18:19], v[14:15], v[18:19]
	v_add_f64 v[14:15], v[34:35], v[16:17]
	v_add_f64 v[36:37], v[49:50], v[36:37]
	v_fma_f64 v[49:50], v[252:253], s[26:27], -v[55:56]
	v_add_f64 v[42:43], v[20:21], v[42:43]
	v_add_f64 v[18:19], v[22:23], v[18:19]
	s_waitcnt vmcnt(0)
	v_add_f64 v[44:45], v[44:45], v[64:65]
	buffer_load_dword v64, off, s[68:71], 0 offset:372 ; 4-byte Folded Reload
	buffer_load_dword v65, off, s[68:71], 0 offset:376 ; 4-byte Folded Reload
	s_waitcnt vmcnt(0)
	v_add_f64 v[32:33], v[32:33], v[64:65]
	buffer_load_dword v64, off, s[68:71], 0 offset:684 ; 4-byte Folded Reload
	buffer_load_dword v65, off, s[68:71], 0 offset:688 ; 4-byte Folded Reload
	;; [unrolled: 4-line block ×5, first 2 shown]
	v_add_f64 v[44:45], v[44:45], v[122:123]
	s_waitcnt vmcnt(0)
	v_add_f64 v[32:33], v[32:33], v[64:65]
	buffer_load_dword v64, off, s[68:71], 0 offset:340 ; 4-byte Folded Reload
	buffer_load_dword v65, off, s[68:71], 0 offset:344 ; 4-byte Folded Reload
	s_waitcnt vmcnt(0)
	v_add_f64 v[32:33], v[32:33], v[64:65]
	buffer_load_dword v64, off, s[68:71], 0 offset:652 ; 4-byte Folded Reload
	buffer_load_dword v65, off, s[68:71], 0 offset:656 ; 4-byte Folded Reload
	;; [unrolled: 4-line block ×4, first 2 shown]
	buffer_load_dword v12, off, s[68:71], 0 offset:876 ; 4-byte Folded Reload
	buffer_load_dword v13, off, s[68:71], 0 offset:880 ; 4-byte Folded Reload
	v_add_f64 v[32:33], v[32:33], v[118:119]
	s_waitcnt vmcnt(2)
	v_add_f64 v[44:45], v[44:45], v[64:65]
	s_waitcnt vmcnt(0)
	v_add_f64 v[32:33], v[32:33], v[12:13]
	buffer_load_dword v12, off, s[68:71], 0 offset:868 ; 4-byte Folded Reload
	buffer_load_dword v13, off, s[68:71], 0 offset:872 ; 4-byte Folded Reload
	;; [unrolled: 1-line block ×4, first 2 shown]
	v_add_f64 v[44:45], v[44:45], v[120:121]
	s_waitcnt vmcnt(2)
	v_add_f64 v[44:45], v[44:45], v[12:13]
	s_waitcnt vmcnt(0)
	v_add_f64 v[22:23], v[32:33], v[16:17]
	buffer_load_dword v16, off, s[68:71], 0 offset:852 ; 4-byte Folded Reload
	buffer_load_dword v17, off, s[68:71], 0 offset:856 ; 4-byte Folded Reload
	buffer_load_dword v32, off, s[68:71], 0 ; 4-byte Folded Reload
	buffer_load_dword v33, off, s[68:71], 0 offset:248 ; 4-byte Folded Reload
	v_add_f64 v[12:13], v[26:27], v[24:25]
	v_add_f64 v[26:27], v[38:39], v[40:41]
	;; [unrolled: 1-line block ×3, first 2 shown]
	s_waitcnt vmcnt(2)
	v_add_f64 v[20:21], v[44:45], v[16:17]
	s_waitcnt vmcnt(1)
	v_lshrrev_b32_e32 v32, 1, v32
	v_mul_u32_u24_e32 v32, 34, v32
	s_waitcnt vmcnt(0)
	v_or_b32_e32 v32, v32, v33
	buffer_load_dword v33, off, s[68:71], 0 offset:244 ; 4-byte Folded Reload
	v_add_f64 v[16:17], v[46:47], v[36:37]
	s_waitcnt vmcnt(0)
	v_lshl_add_u32 v32, v32, 4, v33
	ds_write_b128 v32, v[20:23]
	ds_write_b128 v32, v[16:19] offset:32
	ds_write_b128 v32, v[12:15] offset:64
	;; [unrolled: 1-line block ×6, first 2 shown]
	buffer_load_dword v4, off, s[68:71], 0 offset:820 ; 4-byte Folded Reload
	buffer_load_dword v5, off, s[68:71], 0 offset:824 ; 4-byte Folded Reload
	buffer_load_dword v6, off, s[68:71], 0 offset:828 ; 4-byte Folded Reload
	buffer_load_dword v7, off, s[68:71], 0 offset:832 ; 4-byte Folded Reload
	s_waitcnt vmcnt(0)
	ds_write_b128 v32, v[4:7] offset:224
	buffer_load_dword v4, off, s[68:71], 0 offset:788 ; 4-byte Folded Reload
	buffer_load_dword v5, off, s[68:71], 0 offset:792 ; 4-byte Folded Reload
	buffer_load_dword v6, off, s[68:71], 0 offset:796 ; 4-byte Folded Reload
	buffer_load_dword v7, off, s[68:71], 0 offset:800 ; 4-byte Folded Reload
	s_waitcnt vmcnt(0)
	ds_write_b128 v32, v[4:7] offset:256
	;; [unrolled: 6-line block ×5, first 2 shown]
	ds_write_b128 v32, v[0:3] offset:384
	ds_write_b128 v32, v[8:11] offset:416
	;; [unrolled: 1-line block ×5, first 2 shown]
.LBB0_25:
	s_or_b64 exec, exec, s[36:37]
	s_waitcnt lgkmcnt(0)
	s_barrier
	ds_read_b128 v[24:27], v48
	ds_read_b128 v[20:23], v48 offset:1088
	ds_read_b128 v[104:107], v48 offset:9248
	;; [unrolled: 1-line block ×13, first 2 shown]
	s_and_saveexec_b64 s[2:3], s[0:1]
	s_cbranch_execz .LBB0_27
; %bb.26:
	ds_read_b128 v[100:103], v48 offset:7616
	ds_read_b128 v[92:95], v48 offset:15776
.LBB0_27:
	s_or_b64 exec, exec, s[2:3]
	buffer_load_dword v58, off, s[68:71], 0 offset:252 ; 4-byte Folded Reload
	buffer_load_dword v59, off, s[68:71], 0 offset:256 ; 4-byte Folded Reload
	;; [unrolled: 1-line block ×4, first 2 shown]
	v_add_u32_e32 v50, 0x440, v48
	v_add_u32_e32 v49, 0x880, v48
	s_waitcnt vmcnt(0) lgkmcnt(3)
	v_mul_f64 v[51:52], v[60:61], v[110:111]
	v_mul_f64 v[53:54], v[60:61], v[108:109]
	buffer_load_dword v60, off, s[68:71], 0 offset:268 ; 4-byte Folded Reload
	buffer_load_dword v61, off, s[68:71], 0 offset:272 ; 4-byte Folded Reload
	buffer_load_dword v62, off, s[68:71], 0 offset:276 ; 4-byte Folded Reload
	buffer_load_dword v63, off, s[68:71], 0 offset:280 ; 4-byte Folded Reload
	s_waitcnt vmcnt(0) lgkmcnt(0)
	s_barrier
	v_fma_f64 v[51:52], v[58:59], v[108:109], v[51:52]
	v_fma_f64 v[53:54], v[58:59], v[110:111], -v[53:54]
	v_mul_f64 v[55:56], v[62:63], v[106:107]
	v_mul_f64 v[58:59], v[62:63], v[104:105]
	v_fma_f64 v[55:56], v[60:61], v[104:105], v[55:56]
	v_fma_f64 v[58:59], v[60:61], v[106:107], -v[58:59]
	v_mul_f64 v[60:61], v[70:71], v[46:47]
	v_fma_f64 v[60:61], v[68:69], v[44:45], v[60:61]
	v_mul_f64 v[44:45], v[70:71], v[44:45]
	v_fma_f64 v[44:45], v[68:69], v[46:47], -v[44:45]
	v_mul_f64 v[46:47], v[74:75], v[42:43]
	v_fma_f64 v[46:47], v[72:73], v[40:41], v[46:47]
	v_mul_f64 v[40:41], v[74:75], v[40:41]
	v_fma_f64 v[42:43], v[72:73], v[42:43], -v[40:41]
	v_mul_f64 v[40:41], v[78:79], v[38:39]
	v_add_f64 v[42:43], v[14:15], -v[42:43]
	v_fma_f64 v[62:63], v[76:77], v[36:37], v[40:41]
	v_mul_f64 v[36:37], v[78:79], v[36:37]
	v_add_f64 v[40:41], v[12:13], -v[46:47]
	v_fma_f64 v[14:15], v[14:15], 2.0, -v[42:43]
	v_fma_f64 v[64:65], v[76:77], v[38:39], -v[36:37]
	v_mul_f64 v[36:37], v[82:83], v[34:35]
	v_add_f64 v[38:39], v[18:19], -v[44:45]
	v_fma_f64 v[12:13], v[12:13], 2.0, -v[40:41]
	v_add_f64 v[44:45], v[8:9], -v[62:63]
	v_add_f64 v[46:47], v[10:11], -v[64:65]
	v_fma_f64 v[66:67], v[80:81], v[32:33], v[36:37]
	v_mul_f64 v[32:33], v[82:83], v[32:33]
	v_add_f64 v[36:37], v[16:17], -v[60:61]
	v_fma_f64 v[18:19], v[18:19], 2.0, -v[38:39]
	v_fma_f64 v[8:9], v[8:9], 2.0, -v[44:45]
	;; [unrolled: 1-line block ×3, first 2 shown]
	v_fma_f64 v[68:69], v[80:81], v[34:35], -v[32:33]
	v_mul_f64 v[32:33], v[86:87], v[30:31]
	v_add_f64 v[34:35], v[22:23], -v[58:59]
	v_fma_f64 v[16:17], v[16:17], 2.0, -v[36:37]
	v_fma_f64 v[70:71], v[84:85], v[28:29], v[32:33]
	v_add_f64 v[32:33], v[20:21], -v[55:56]
	buffer_load_dword v55, off, s[68:71], 0 offset:292 ; 4-byte Folded Reload
	v_mul_f64 v[28:29], v[86:87], v[28:29]
	v_fma_f64 v[22:23], v[22:23], 2.0, -v[34:35]
	v_add_f64 v[58:59], v[0:1], -v[70:71]
	v_fma_f64 v[20:21], v[20:21], 2.0, -v[32:33]
	v_fma_f64 v[72:73], v[84:85], v[30:31], -v[28:29]
	v_add_f64 v[28:29], v[24:25], -v[51:52]
	v_add_f64 v[30:31], v[26:27], -v[53:54]
	;; [unrolled: 1-line block ×4, first 2 shown]
	v_fma_f64 v[0:1], v[0:1], 2.0, -v[58:59]
	v_add_f64 v[60:61], v[2:3], -v[72:73]
	v_fma_f64 v[24:25], v[24:25], 2.0, -v[28:29]
	v_fma_f64 v[26:27], v[26:27], 2.0, -v[30:31]
	;; [unrolled: 1-line block ×4, first 2 shown]
	s_waitcnt vmcnt(0)
	ds_write_b128 v55, v[24:27]
	ds_write_b128 v55, v[28:31] offset:544
	buffer_load_dword v24, off, s[68:71], 0 offset:300 ; 4-byte Folded Reload
	v_fma_f64 v[2:3], v[2:3], 2.0, -v[60:61]
	s_waitcnt vmcnt(0)
	ds_write_b128 v24, v[20:23]
	ds_write_b128 v24, v[32:35] offset:544
	buffer_load_dword v20, off, s[68:71], 0 offset:308 ; 4-byte Folded Reload
	s_waitcnt vmcnt(0)
	ds_write_b128 v20, v[16:19]
	ds_write_b128 v20, v[36:39] offset:544
	buffer_load_dword v16, off, s[68:71], 0 offset:316 ; 4-byte Folded Reload
	s_waitcnt vmcnt(0)
	ds_write_b128 v16, v[12:15]
	ds_write_b128 v16, v[40:43] offset:544
	buffer_load_dword v12, off, s[68:71], 0 offset:324 ; 4-byte Folded Reload
	s_waitcnt vmcnt(0)
	ds_write_b128 v12, v[8:11]
	ds_write_b128 v12, v[44:47] offset:544
	buffer_load_dword v8, off, s[68:71], 0 offset:332 ; 4-byte Folded Reload
	s_waitcnt vmcnt(0)
	ds_write_b128 v8, v[4:7]
	ds_write_b128 v8, v[51:54] offset:544
	buffer_load_dword v4, off, s[68:71], 0 offset:356 ; 4-byte Folded Reload
	s_waitcnt vmcnt(0)
	ds_write_b128 v4, v[0:3]
	ds_write_b128 v4, v[58:61] offset:544
	s_and_saveexec_b64 s[2:3], s[0:1]
	s_cbranch_execz .LBB0_29
; %bb.28:
	buffer_load_dword v4, off, s[68:71], 0 offset:428 ; 4-byte Folded Reload
	buffer_load_dword v5, off, s[68:71], 0 offset:432 ; 4-byte Folded Reload
	;; [unrolled: 1-line block ×5, first 2 shown]
	s_waitcnt vmcnt(1)
	v_mul_f64 v[0:1], v[6:7], v[92:93]
	v_mul_f64 v[2:3], v[6:7], v[94:95]
	v_fma_f64 v[0:1], v[4:5], v[94:95], -v[0:1]
	v_fma_f64 v[4:5], v[4:5], v[92:93], v[2:3]
	v_add_f64 v[2:3], v[102:103], -v[0:1]
	v_add_f64 v[0:1], v[100:101], -v[4:5]
	v_fma_f64 v[6:7], v[102:103], 2.0, -v[2:3]
	v_fma_f64 v[4:5], v[100:101], 2.0, -v[0:1]
	s_waitcnt vmcnt(0)
	ds_write_b128 v8, v[4:7] offset:15232
	ds_write_b128 v8, v[0:3] offset:15776
.LBB0_29:
	s_or_b64 exec, exec, s[2:3]
	buffer_load_dword v92, off, s[68:71], 0 offset:124 ; 4-byte Folded Reload
	buffer_load_dword v93, off, s[68:71], 0 offset:128 ; 4-byte Folded Reload
	s_waitcnt vmcnt(0) lgkmcnt(0)
	s_barrier
	ds_read_b128 v[2:5], v48 offset:5440
	ds_read_b128 v[6:9], v48
	ds_read_b128 v[10:13], v48 offset:1088
	ds_read_b128 v[14:17], v48 offset:10880
	;; [unrolled: 1-line block ×10, first 2 shown]
	s_waitcnt lgkmcnt(11)
	v_mul_f64 v[46:47], v[98:99], v[4:5]
	v_mul_f64 v[55:56], v[98:99], v[2:3]
	s_waitcnt lgkmcnt(8)
	v_mul_f64 v[70:71], v[90:91], v[16:17]
	v_mul_f64 v[72:73], v[90:91], v[14:15]
	s_waitcnt lgkmcnt(6)
	v_mul_f64 v[76:77], v[98:99], v[22:23]
	ds_read_b128 v[58:61], v48 offset:8704
	ds_read_b128 v[62:65], v48 offset:9792
	v_mul_f64 v[74:75], v[98:99], v[24:25]
	ds_read_b128 v[66:69], v48 offset:15232
	v_fma_f64 v[46:47], v[96:97], v[2:3], v[46:47]
	v_fma_f64 v[4:5], v[96:97], v[4:5], -v[55:56]
	v_mul_f64 v[2:3], v[90:91], v[20:21]
	v_fma_f64 v[14:15], v[88:89], v[14:15], v[70:71]
	v_mul_f64 v[55:56], v[90:91], v[18:19]
	s_waitcnt lgkmcnt(8)
	v_mul_f64 v[70:71], v[154:155], v[28:29]
	v_fma_f64 v[16:17], v[88:89], v[16:17], -v[72:73]
	v_fma_f64 v[24:25], v[96:97], v[24:25], -v[76:77]
	v_mul_f64 v[72:73], v[154:155], v[26:27]
	s_waitcnt lgkmcnt(2)
	v_mul_f64 v[76:77], v[174:175], v[60:61]
	v_fma_f64 v[18:19], v[88:89], v[18:19], v[2:3]
	v_mul_f64 v[2:3], v[150:151], v[40:41]
	v_fma_f64 v[20:21], v[88:89], v[20:21], -v[55:56]
	v_mul_f64 v[55:56], v[174:175], v[58:59]
	v_fma_f64 v[26:27], v[152:153], v[26:27], v[70:71]
	v_mul_f64 v[70:71], v[170:171], v[44:45]
	v_fma_f64 v[22:23], v[96:97], v[22:23], v[74:75]
	v_mul_f64 v[74:75], v[150:151], v[38:39]
	v_fma_f64 v[28:29], v[152:153], v[28:29], -v[72:73]
	v_fma_f64 v[38:39], v[148:149], v[38:39], v[2:3]
	v_fma_f64 v[72:73], v[172:173], v[58:59], v[76:77]
	v_mul_f64 v[2:3], v[170:171], v[42:43]
	v_fma_f64 v[55:56], v[172:173], v[60:61], -v[55:56]
	s_waitcnt lgkmcnt(1)
	v_mul_f64 v[58:59], v[182:183], v[64:65]
	v_add_f64 v[60:61], v[46:47], v[14:15]
	v_fma_f64 v[70:71], v[168:169], v[42:43], v[70:71]
	v_mul_f64 v[42:43], v[182:183], v[62:63]
	v_fma_f64 v[40:41], v[148:149], v[40:41], -v[74:75]
	s_waitcnt lgkmcnt(0)
	v_mul_f64 v[74:75], v[178:179], v[68:69]
	v_fma_f64 v[44:45], v[168:169], v[44:45], -v[2:3]
	v_add_f64 v[2:3], v[6:7], v[46:47]
	v_fma_f64 v[62:63], v[180:181], v[62:63], v[58:59]
	v_fma_f64 v[58:59], v[60:61], -0.5, v[6:7]
	v_add_f64 v[60:61], v[4:5], -v[16:17]
	v_fma_f64 v[64:65], v[180:181], v[64:65], -v[42:43]
	v_add_f64 v[42:43], v[4:5], v[16:17]
	v_mul_f64 v[76:77], v[178:179], v[66:67]
	s_mov_b32 s5, 0x3febb67a
	v_fma_f64 v[66:67], v[176:177], v[66:67], v[74:75]
	v_add_f64 v[2:3], v[2:3], v[14:15]
	v_add_f64 v[4:5], v[8:9], v[4:5]
	;; [unrolled: 1-line block ×3, first 2 shown]
	v_add_f64 v[46:47], v[46:47], -v[14:15]
	v_fma_f64 v[42:43], v[42:43], -0.5, v[8:9]
	v_fma_f64 v[68:69], v[176:177], v[68:69], -v[76:77]
	v_add_f64 v[76:77], v[24:25], -v[20:21]
	s_barrier
	v_add_f64 v[4:5], v[4:5], v[16:17]
	v_fma_f64 v[74:75], v[74:75], -0.5, v[10:11]
	v_add_f64 v[78:79], v[72:73], v[70:71]
	v_add_f64 v[80:81], v[62:63], -v[66:67]
	s_mov_b32 s7, 0x3fee6f0e
	s_mov_b32 s15, 0x3fe2cf23
	;; [unrolled: 1-line block ×4, first 2 shown]
	v_mad_u64_u32 v[0:1], s[2:3], s10, v92, 0
	s_mov_b32 s2, 0xe8584caa
	s_mov_b32 s3, 0xbfebb67a
	;; [unrolled: 1-line block ×3, first 2 shown]
	v_fma_f64 v[6:7], v[60:61], s[2:3], v[58:59]
	v_fma_f64 v[14:15], v[60:61], s[4:5], v[58:59]
	v_add_f64 v[58:59], v[10:11], v[22:23]
	v_add_f64 v[60:61], v[24:25], v[20:21]
	;; [unrolled: 1-line block ×3, first 2 shown]
	v_fma_f64 v[8:9], v[46:47], s[4:5], v[42:43]
	v_fma_f64 v[16:17], v[46:47], s[2:3], v[42:43]
	v_add_f64 v[42:43], v[26:27], v[38:39]
	v_add_f64 v[10:11], v[58:59], v[18:19]
	v_fma_f64 v[46:47], v[60:61], -0.5, v[12:13]
	v_add_f64 v[58:59], v[22:23], -v[18:19]
	v_add_f64 v[12:13], v[24:25], v[20:21]
	v_fma_f64 v[18:19], v[76:77], s[2:3], v[74:75]
	v_fma_f64 v[22:23], v[76:77], s[4:5], v[74:75]
	v_add_f64 v[60:61], v[28:29], v[40:41]
	v_add_f64 v[74:75], v[30:31], v[26:27]
	v_add_f64 v[76:77], v[28:29], -v[40:41]
	v_add_f64 v[28:29], v[32:33], v[28:29]
	v_fma_f64 v[20:21], v[58:59], s[4:5], v[46:47]
	v_fma_f64 v[24:25], v[58:59], s[2:3], v[46:47]
	ds_write_b128 v48, v[2:5]
	ds_write_b128 v48, v[6:9] offset:1088
	ds_write_b128 v48, v[14:17] offset:2176
	;; [unrolled: 1-line block ×5, first 2 shown]
	buffer_load_dword v2, off, s[68:71], 0 offset:404 ; 4-byte Folded Reload
	v_fma_f64 v[42:43], v[42:43], -0.5, v[30:31]
	v_fma_f64 v[46:47], v[60:61], -0.5, v[32:33]
	v_add_f64 v[58:59], v[26:27], -v[38:39]
	v_add_f64 v[26:27], v[74:75], v[38:39]
	v_add_f64 v[28:29], v[28:29], v[40:41]
	;; [unrolled: 1-line block ×3, first 2 shown]
	v_fma_f64 v[74:75], v[78:79], -0.5, v[34:35]
	v_add_f64 v[78:79], v[55:56], -v[44:45]
	v_fma_f64 v[30:31], v[76:77], s[2:3], v[42:43]
	v_fma_f64 v[38:39], v[76:77], s[4:5], v[42:43]
	;; [unrolled: 1-line block ×4, first 2 shown]
	v_add_f64 v[76:77], v[55:56], v[44:45]
	v_add_f64 v[55:56], v[36:37], v[55:56]
	;; [unrolled: 1-line block ×3, first 2 shown]
	v_fma_f64 v[42:43], v[78:79], s[2:3], v[74:75]
	v_fma_f64 v[58:59], v[78:79], s[4:5], v[74:75]
	v_add_f64 v[70:71], v[72:73], -v[70:71]
	v_add_f64 v[60:61], v[64:65], v[68:69]
	v_add_f64 v[46:47], v[62:63], v[66:67]
	v_fma_f64 v[74:75], v[76:77], -0.5, v[36:37]
	v_add_f64 v[36:37], v[55:56], v[44:45]
	v_add_f64 v[72:73], v[51:52], v[62:63]
	v_add_f64 v[76:77], v[64:65], -v[68:69]
	v_add_f64 v[64:65], v[53:54], v[64:65]
	s_waitcnt vmcnt(0)
	ds_write_b128 v2, v[26:29] offset:6528
	ds_write_b128 v2, v[30:33] offset:7616
	;; [unrolled: 1-line block ×3, first 2 shown]
	buffer_load_dword v2, off, s[68:71], 0 offset:412 ; 4-byte Folded Reload
	v_fma_f64 v[44:45], v[70:71], s[4:5], v[74:75]
	v_fma_f64 v[78:79], v[60:61], -0.5, v[53:54]
	v_fma_f64 v[60:61], v[70:71], s[2:3], v[74:75]
	v_fma_f64 v[46:47], v[46:47], -0.5, v[51:52]
	v_add_f64 v[51:52], v[72:73], v[66:67]
	v_add_f64 v[53:54], v[64:65], v[68:69]
	s_waitcnt vmcnt(0)
	ds_write_b128 v2, v[34:37] offset:9792
	ds_write_b128 v2, v[42:45] offset:10880
	;; [unrolled: 1-line block ×3, first 2 shown]
	buffer_load_dword v2, off, s[68:71], 0 offset:420 ; 4-byte Folded Reload
	v_fma_f64 v[62:63], v[76:77], s[2:3], v[46:47]
	v_fma_f64 v[64:65], v[80:81], s[4:5], v[78:79]
	;; [unrolled: 1-line block ×4, first 2 shown]
	s_mov_b32 s2, 0x134454ff
	s_mov_b32 s3, 0xbfee6f0e
	s_mov_b32 s4, 0x4755a5e
	s_mov_b32 s5, 0xbfe2cf23
	s_mov_b32 s6, s2
	s_mov_b32 s14, s4
	s_waitcnt vmcnt(0)
	ds_write_b128 v2, v[51:54] offset:13056
	ds_write_b128 v2, v[62:65] offset:14144
	;; [unrolled: 1-line block ×3, first 2 shown]
	s_waitcnt lgkmcnt(0)
	s_barrier
	ds_read_b128 v[2:5], v48
	ds_read_b128 v[6:9], v48 offset:1088
	ds_read_b128 v[10:13], v48 offset:6528
	;; [unrolled: 1-line block ×11, first 2 shown]
	s_waitcnt lgkmcnt(5)
	v_mul_f64 v[46:47], v[198:199], v[28:29]
	v_mul_f64 v[55:56], v[198:199], v[26:27]
	v_mul_f64 v[70:71], v[194:195], v[12:13]
	v_mul_f64 v[72:73], v[194:195], v[10:11]
	s_waitcnt lgkmcnt(1)
	v_mul_f64 v[74:75], v[190:191], v[44:45]
	v_mul_f64 v[76:77], v[190:191], v[42:43]
	ds_read_b128 v[58:61], v48 offset:10880
	ds_read_b128 v[62:65], v48 offset:11968
	;; [unrolled: 1-line block ×3, first 2 shown]
	v_mul_f64 v[78:79], v[186:187], v[18:19]
	v_fma_f64 v[26:27], v[196:197], v[26:27], v[46:47]
	v_mul_f64 v[46:47], v[186:187], v[20:21]
	v_fma_f64 v[28:29], v[196:197], v[28:29], -v[55:56]
	v_fma_f64 v[55:56], v[192:193], v[10:11], v[70:71]
	v_mul_f64 v[10:11], v[218:219], v[36:37]
	v_fma_f64 v[70:71], v[192:193], v[12:13], -v[72:73]
	v_fma_f64 v[12:13], v[188:189], v[42:43], v[74:75]
	v_fma_f64 v[42:43], v[188:189], v[44:45], -v[76:77]
	v_mul_f64 v[44:45], v[218:219], v[34:35]
	v_fma_f64 v[18:19], v[184:185], v[18:19], v[46:47]
	v_mul_f64 v[46:47], v[210:211], v[16:17]
	v_mul_f64 v[72:73], v[210:211], v[14:15]
	s_waitcnt lgkmcnt(2)
	v_mul_f64 v[76:77], v[206:207], v[58:59]
	v_fma_f64 v[34:35], v[216:217], v[34:35], v[10:11]
	v_mul_f64 v[10:11], v[202:203], v[24:25]
	v_fma_f64 v[20:21], v[184:185], v[20:21], -v[78:79]
	v_mul_f64 v[74:75], v[206:207], v[60:61]
	v_mul_f64 v[78:79], v[202:203], v[22:23]
	v_fma_f64 v[36:37], v[216:217], v[36:37], -v[44:45]
	v_fma_f64 v[44:45], v[208:209], v[14:15], v[46:47]
	v_fma_f64 v[46:47], v[208:209], v[16:17], -v[72:73]
	v_fma_f64 v[60:61], v[204:205], v[60:61], -v[76:77]
	v_mul_f64 v[14:15], v[230:231], v[40:41]
	v_fma_f64 v[72:73], v[200:201], v[22:23], v[10:11]
	v_mul_f64 v[10:11], v[230:231], v[38:39]
	v_mul_f64 v[16:17], v[226:227], v[53:54]
	v_add_f64 v[22:23], v[2:3], v[26:27]
	v_add_f64 v[76:77], v[55:56], v[12:13]
	v_fma_f64 v[58:59], v[204:205], v[58:59], v[74:75]
	v_fma_f64 v[74:75], v[200:201], v[24:25], -v[78:79]
	v_fma_f64 v[78:79], v[228:229], v[38:39], v[14:15]
	s_waitcnt lgkmcnt(1)
	v_mul_f64 v[14:15], v[222:223], v[64:65]
	v_mul_f64 v[38:39], v[222:223], v[62:63]
	v_fma_f64 v[80:81], v[228:229], v[40:41], -v[10:11]
	v_fma_f64 v[82:83], v[224:225], v[51:52], v[16:17]
	v_add_f64 v[10:11], v[22:23], v[55:56]
	v_fma_f64 v[16:17], v[76:77], -0.5, v[2:3]
	v_add_f64 v[22:23], v[28:29], -v[20:21]
	v_mul_f64 v[24:25], v[226:227], v[51:52]
	v_fma_f64 v[62:63], v[220:221], v[62:63], v[14:15]
	v_fma_f64 v[64:65], v[220:221], v[64:65], -v[38:39]
	s_waitcnt lgkmcnt(0)
	v_mul_f64 v[14:15], v[214:215], v[68:69]
	v_add_f64 v[40:41], v[70:71], -v[42:43]
	v_add_f64 v[51:52], v[26:27], v[18:19]
	v_add_f64 v[76:77], v[26:27], -v[55:56]
	v_fma_f64 v[38:39], v[22:23], s[2:3], v[16:17]
	v_fma_f64 v[53:54], v[224:225], v[53:54], -v[24:25]
	v_mul_f64 v[24:25], v[214:215], v[66:67]
	v_add_f64 v[84:85], v[18:19], -v[12:13]
	v_fma_f64 v[66:67], v[212:213], v[66:67], v[14:15]
	v_add_f64 v[10:11], v[10:11], v[12:13]
	v_fma_f64 v[2:3], v[51:52], -0.5, v[2:3]
	v_add_f64 v[51:52], v[70:71], v[42:43]
	v_fma_f64 v[14:15], v[40:41], s[4:5], v[38:39]
	v_add_f64 v[38:39], v[4:5], v[28:29]
	v_fma_f64 v[68:69], v[212:213], v[68:69], -v[24:25]
	v_add_f64 v[24:25], v[76:77], v[84:85]
	v_fma_f64 v[16:17], v[22:23], s[6:7], v[16:17]
	v_add_f64 v[84:85], v[55:56], -v[26:27]
	v_fma_f64 v[76:77], v[40:41], s[6:7], v[2:3]
	v_add_f64 v[86:87], v[12:13], -v[18:19]
	v_fma_f64 v[2:3], v[40:41], s[2:3], v[2:3]
	v_add_f64 v[38:39], v[38:39], v[70:71]
	v_add_f64 v[10:11], v[10:11], v[18:19]
	v_fma_f64 v[51:52], v[51:52], -0.5, v[4:5]
	v_add_f64 v[26:27], v[26:27], -v[18:19]
	v_fma_f64 v[16:17], v[40:41], s[14:15], v[16:17]
	v_fma_f64 v[18:19], v[22:23], s[4:5], v[76:77]
	v_add_f64 v[40:41], v[84:85], v[86:87]
	v_fma_f64 v[22:23], v[22:23], s[14:15], v[2:3]
	v_add_f64 v[38:39], v[38:39], v[42:43]
	v_add_f64 v[84:85], v[28:29], v[20:21]
	v_add_f64 v[55:56], v[55:56], -v[12:13]
	v_fma_f64 v[76:77], v[26:27], s[6:7], v[51:52]
	v_fma_f64 v[2:3], v[24:25], s[16:17], v[14:15]
	;; [unrolled: 1-line block ×5, first 2 shown]
	v_add_f64 v[12:13], v[38:39], v[20:21]
	v_fma_f64 v[4:5], v[84:85], -0.5, v[4:5]
	v_add_f64 v[24:25], v[28:29], -v[70:71]
	v_add_f64 v[38:39], v[20:21], -v[42:43]
	v_add_f64 v[40:41], v[6:7], v[34:35]
	v_fma_f64 v[16:17], v[55:56], s[14:15], v[76:77]
	v_fma_f64 v[51:52], v[26:27], s[2:3], v[51:52]
	v_add_f64 v[76:77], v[44:45], v[58:59]
	v_add_f64 v[28:29], v[70:71], -v[28:29]
	v_fma_f64 v[84:85], v[55:56], s[2:3], v[4:5]
	v_add_f64 v[20:21], v[42:43], -v[20:21]
	v_fma_f64 v[4:5], v[55:56], s[6:7], v[4:5]
	v_add_f64 v[24:25], v[24:25], v[38:39]
	v_add_f64 v[38:39], v[40:41], v[44:45]
	v_fma_f64 v[40:41], v[55:56], s[4:5], v[51:52]
	v_fma_f64 v[42:43], v[76:77], -0.5, v[6:7]
	v_add_f64 v[51:52], v[36:37], -v[74:75]
	v_fma_f64 v[55:56], v[26:27], s[14:15], v[84:85]
	v_add_f64 v[28:29], v[28:29], v[20:21]
	v_fma_f64 v[26:27], v[26:27], s[4:5], v[4:5]
	v_add_f64 v[70:71], v[34:35], v[72:73]
	v_add_f64 v[38:39], v[38:39], v[58:59]
	v_fma_f64 v[4:5], v[24:25], s[16:17], v[16:17]
	v_fma_f64 v[16:17], v[24:25], s[16:17], v[40:41]
	;; [unrolled: 1-line block ×3, first 2 shown]
	v_add_f64 v[76:77], v[46:47], -v[60:61]
	v_fma_f64 v[20:21], v[28:29], s[16:17], v[55:56]
	v_fma_f64 v[24:25], v[28:29], s[16:17], v[26:27]
	v_fma_f64 v[26:27], v[70:71], -0.5, v[6:7]
	v_add_f64 v[6:7], v[38:39], v[72:73]
	v_add_f64 v[28:29], v[34:35], -v[44:45]
	v_add_f64 v[38:39], v[72:73], -v[58:59]
	v_fma_f64 v[42:43], v[51:52], s[6:7], v[42:43]
	v_fma_f64 v[40:41], v[76:77], s[4:5], v[40:41]
	v_add_f64 v[86:87], v[44:45], -v[34:35]
	v_add_f64 v[88:89], v[58:59], -v[72:73]
	v_fma_f64 v[84:85], v[76:77], s[6:7], v[26:27]
	v_add_f64 v[55:56], v[8:9], v[36:37]
	v_add_f64 v[70:71], v[46:47], v[60:61]
	;; [unrolled: 1-line block ×3, first 2 shown]
	v_fma_f64 v[38:39], v[76:77], s[14:15], v[42:43]
	v_fma_f64 v[42:43], v[76:77], s[2:3], v[26:27]
	v_add_f64 v[72:73], v[34:35], -v[72:73]
	v_add_f64 v[44:45], v[44:45], -v[58:59]
	v_fma_f64 v[76:77], v[51:52], s[4:5], v[84:85]
	v_add_f64 v[84:85], v[86:87], v[88:89]
	v_add_f64 v[55:56], v[55:56], v[46:47]
	v_fma_f64 v[26:27], v[28:29], s[16:17], v[40:41]
	v_fma_f64 v[34:35], v[28:29], s[16:17], v[38:39]
	;; [unrolled: 1-line block ×3, first 2 shown]
	v_add_f64 v[51:52], v[36:37], v[74:75]
	v_fma_f64 v[70:71], v[70:71], -0.5, v[8:9]
	v_add_f64 v[58:59], v[82:83], v[62:63]
	v_fma_f64 v[38:39], v[84:85], s[16:17], v[76:77]
	v_add_f64 v[40:41], v[55:56], v[60:61]
	v_add_f64 v[76:77], v[36:37], -v[46:47]
	v_add_f64 v[86:87], v[74:75], -v[60:61]
	v_fma_f64 v[42:43], v[84:85], s[16:17], v[28:29]
	v_fma_f64 v[28:29], v[51:52], -0.5, v[8:9]
	v_fma_f64 v[55:56], v[72:73], s[6:7], v[70:71]
	v_add_f64 v[51:52], v[30:31], v[78:79]
	v_fma_f64 v[70:71], v[72:73], s[2:3], v[70:71]
	v_add_f64 v[36:37], v[46:47], -v[36:37]
	v_add_f64 v[46:47], v[60:61], -v[74:75]
	v_add_f64 v[8:9], v[40:41], v[74:75]
	v_add_f64 v[76:77], v[76:77], v[86:87]
	v_fma_f64 v[84:85], v[44:45], s[2:3], v[28:29]
	v_fma_f64 v[28:29], v[44:45], s[6:7], v[28:29]
	;; [unrolled: 1-line block ×3, first 2 shown]
	v_fma_f64 v[55:56], v[58:59], -0.5, v[30:31]
	v_add_f64 v[58:59], v[80:81], -v[68:69]
	v_add_f64 v[51:52], v[51:52], v[82:83]
	v_fma_f64 v[44:45], v[44:45], s[4:5], v[70:71]
	v_add_f64 v[46:47], v[36:37], v[46:47]
	v_fma_f64 v[84:85], v[72:73], s[14:15], v[84:85]
	v_fma_f64 v[72:73], v[72:73], s[4:5], v[28:29]
	v_add_f64 v[74:75], v[53:54], -v[64:65]
	v_add_f64 v[86:87], v[78:79], -v[82:83]
	v_fma_f64 v[60:61], v[58:59], s[2:3], v[55:56]
	v_add_f64 v[88:89], v[66:67], -v[62:63]
	v_add_f64 v[70:71], v[78:79], v[66:67]
	v_add_f64 v[51:52], v[51:52], v[62:63]
	v_fma_f64 v[28:29], v[76:77], s[16:17], v[40:41]
	v_fma_f64 v[36:37], v[76:77], s[16:17], v[44:45]
	;; [unrolled: 1-line block ×4, first 2 shown]
	v_add_f64 v[46:47], v[53:54], v[64:65]
	v_add_f64 v[76:77], v[80:81], v[68:69]
	v_fma_f64 v[60:61], v[74:75], s[4:5], v[60:61]
	v_add_f64 v[86:87], v[86:87], v[88:89]
	v_fma_f64 v[70:71], v[70:71], -0.5, v[30:31]
	v_add_f64 v[30:31], v[51:52], v[66:67]
	v_fma_f64 v[55:56], v[58:59], s[6:7], v[55:56]
	v_add_f64 v[72:73], v[82:83], -v[78:79]
	v_add_f64 v[84:85], v[62:63], -v[66:67]
	v_add_f64 v[88:89], v[32:33], v[80:81]
	v_fma_f64 v[46:47], v[46:47], -0.5, v[32:33]
	v_add_f64 v[66:67], v[78:79], -v[66:67]
	v_add_f64 v[62:63], v[82:83], -v[62:63]
	v_fma_f64 v[32:33], v[76:77], -0.5, v[32:33]
	v_fma_f64 v[51:52], v[86:87], s[16:17], v[60:61]
	v_fma_f64 v[60:61], v[74:75], s[6:7], v[70:71]
	;; [unrolled: 1-line block ×3, first 2 shown]
	v_add_f64 v[72:73], v[72:73], v[84:85]
	v_fma_f64 v[70:71], v[74:75], s[2:3], v[70:71]
	v_add_f64 v[74:75], v[88:89], v[53:54]
	v_fma_f64 v[76:77], v[66:67], s[6:7], v[46:47]
	v_add_f64 v[78:79], v[80:81], -v[53:54]
	v_add_f64 v[82:83], v[68:69], -v[64:65]
	v_fma_f64 v[46:47], v[66:67], s[2:3], v[46:47]
	v_fma_f64 v[84:85], v[62:63], s[2:3], v[32:33]
	v_add_f64 v[53:54], v[53:54], -v[80:81]
	v_add_f64 v[80:81], v[64:65], -v[68:69]
	v_fma_f64 v[32:33], v[62:63], s[6:7], v[32:33]
	v_fma_f64 v[60:61], v[58:59], s[4:5], v[60:61]
	;; [unrolled: 1-line block ×3, first 2 shown]
	v_add_f64 v[64:65], v[74:75], v[64:65]
	v_fma_f64 v[74:75], v[62:63], s[14:15], v[76:77]
	v_add_f64 v[76:77], v[78:79], v[82:83]
	v_fma_f64 v[46:47], v[62:63], s[4:5], v[46:47]
	v_fma_f64 v[78:79], v[66:67], s[14:15], v[84:85]
	v_add_f64 v[80:81], v[53:54], v[80:81]
	v_fma_f64 v[82:83], v[66:67], s[4:5], v[32:33]
	v_fma_f64 v[58:59], v[86:87], s[16:17], v[55:56]
	;; [unrolled: 1-line block ×4, first 2 shown]
	v_add_f64 v[32:33], v[64:65], v[68:69]
	v_fma_f64 v[53:54], v[76:77], s[16:17], v[74:75]
	v_fma_f64 v[60:61], v[76:77], s[16:17], v[46:47]
	;; [unrolled: 1-line block ×4, first 2 shown]
	ds_write_b128 v48, v[10:13]
	ds_write_b128 v48, v[2:5] offset:3264
	ds_write_b128 v48, v[18:21] offset:6528
	;; [unrolled: 1-line block ×14, first 2 shown]
	s_waitcnt lgkmcnt(0)
	s_barrier
	ds_read_b128 v[2:5], v48
	ds_read_b128 v[6:9], v48 offset:1088
	buffer_load_dword v15, off, s[68:71], 0 offset:228 ; 4-byte Folded Reload
	buffer_load_dword v16, off, s[68:71], 0 offset:232 ; 4-byte Folded Reload
	;; [unrolled: 1-line block ×4, first 2 shown]
	v_mov_b32_e32 v24, s13
	s_mul_hi_u32 s7, s8, 0xfffffe46
	s_waitcnt lgkmcnt(1)
	v_mad_u64_u32 v[12:13], s[2:3], s11, v92, v[1:2]
	s_mul_i32 s6, s9, 0xfffffe46
	s_sub_i32 s7, s7, s8
	v_mov_b32_e32 v1, v12
	v_lshlrev_b64 v[0:1], 4, v[0:1]
	s_add_i32 s7, s7, s6
	v_add_co_u32_e32 v25, vcc, s12, v0
	v_addc_co_u32_e32 v24, vcc, v24, v1, vcc
	s_mul_i32 s6, s8, 0xfffffe46
	s_lshl_b64 s[6:7], s[6:7], 4
	v_mov_b32_e32 v31, s7
	s_waitcnt vmcnt(0)
	v_mul_f64 v[10:11], v[17:18], v[4:5]
	v_mul_f64 v[13:14], v[17:18], v[2:3]
	v_fma_f64 v[10:11], v[15:16], v[2:3], v[10:11]
	buffer_load_dword v3, off, s[68:71], 0  ; 4-byte Folded Reload
	v_fma_f64 v[12:13], v[15:16], v[4:5], -v[13:14]
	s_waitcnt vmcnt(0)
	v_mad_u64_u32 v[18:19], s[2:3], s8, v3, 0
	s_mov_b32 s2, 0x10101010
	s_mov_b32 s3, 0x3f501010
	v_mov_b32_e32 v2, v19
	v_mad_u64_u32 v[14:15], s[4:5], s9, v3, v[2:3]
	ds_read_b128 v[2:5], v48 offset:8160
	v_mul_f64 v[10:11], v[10:11], s[2:3]
	v_mov_b32_e32 v19, v14
	ds_read_b128 v[14:17], v48 offset:6528
	buffer_load_dword v26, off, s[68:71], 0 offset:12 ; 4-byte Folded Reload
	buffer_load_dword v27, off, s[68:71], 0 offset:16 ; 4-byte Folded Reload
	;; [unrolled: 1-line block ×4, first 2 shown]
	v_mul_f64 v[12:13], v[12:13], s[2:3]
	s_mul_i32 s4, s9, 0x1fe
	s_mul_hi_u32 s5, s8, 0x1fe
	s_add_i32 s5, s5, s4
	s_mul_i32 s4, s8, 0x1fe
	s_lshl_b64 s[4:5], s[4:5], 4
	v_mov_b32_e32 v30, s5
	s_waitcnt vmcnt(0) lgkmcnt(1)
	v_mul_f64 v[20:21], v[28:29], v[4:5]
	v_mul_f64 v[22:23], v[28:29], v[2:3]
	v_fma_f64 v[0:1], v[26:27], v[2:3], v[20:21]
	v_lshlrev_b64 v[2:3], 4, v[18:19]
	v_fma_f64 v[4:5], v[26:27], v[4:5], -v[22:23]
	v_add_co_u32_e32 v18, vcc, v25, v2
	v_addc_co_u32_e32 v19, vcc, v24, v3, vcc
	global_store_dwordx4 v[18:19], v[10:13], off
	buffer_load_dword v20, off, s[68:71], 0 offset:28 ; 4-byte Folded Reload
	buffer_load_dword v21, off, s[68:71], 0 offset:32 ; 4-byte Folded Reload
	;; [unrolled: 1-line block ×4, first 2 shown]
	v_mul_f64 v[0:1], v[0:1], s[2:3]
	v_mul_f64 v[2:3], v[4:5], s[2:3]
	v_add_co_u32_e32 v12, vcc, s4, v18
	v_addc_co_u32_e32 v13, vcc, v19, v30, vcc
	global_store_dwordx4 v[12:13], v[0:3], off
	v_add_co_u32_e32 v12, vcc, s6, v12
	v_addc_co_u32_e32 v13, vcc, v13, v31, vcc
	s_waitcnt vmcnt(1)
	v_mul_f64 v[10:11], v[22:23], v[8:9]
	v_mul_f64 v[4:5], v[22:23], v[6:7]
	v_fma_f64 v[6:7], v[20:21], v[6:7], v[10:11]
	v_fma_f64 v[8:9], v[20:21], v[8:9], -v[4:5]
	v_mul_f64 v[0:1], v[6:7], s[2:3]
	ds_read_b128 v[4:7], v48 offset:9248
	v_mul_f64 v[2:3], v[8:9], s[2:3]
	ds_read_b128 v[8:11], v48 offset:10336
	buffer_load_dword v26, off, s[68:71], 0 offset:60 ; 4-byte Folded Reload
	buffer_load_dword v27, off, s[68:71], 0 offset:64 ; 4-byte Folded Reload
	;; [unrolled: 1-line block ×4, first 2 shown]
	ds_read_b128 v[18:21], v48 offset:2176
	s_waitcnt vmcnt(0) lgkmcnt(2)
	v_mul_f64 v[22:23], v[28:29], v[6:7]
	v_mul_f64 v[24:25], v[28:29], v[4:5]
	v_fma_f64 v[22:23], v[26:27], v[4:5], v[22:23]
	v_fma_f64 v[24:25], v[26:27], v[6:7], -v[24:25]
	ds_read_b128 v[4:7], v48 offset:3264
	buffer_load_dword v32, off, s[68:71], 0 offset:108 ; 4-byte Folded Reload
	buffer_load_dword v33, off, s[68:71], 0 offset:112 ; 4-byte Folded Reload
	buffer_load_dword v34, off, s[68:71], 0 offset:116 ; 4-byte Folded Reload
	buffer_load_dword v35, off, s[68:71], 0 offset:120 ; 4-byte Folded Reload
	s_waitcnt vmcnt(0) lgkmcnt(1)
	v_mul_f64 v[26:27], v[34:35], v[20:21]
	v_mul_f64 v[28:29], v[34:35], v[18:19]
	global_store_dwordx4 v[12:13], v[0:3], off
	v_add_co_u32_e32 v12, vcc, s4, v12
	v_mul_f64 v[0:1], v[22:23], s[2:3]
	v_mul_f64 v[2:3], v[24:25], s[2:3]
	v_addc_co_u32_e32 v13, vcc, v13, v30, vcc
	v_fma_f64 v[18:19], v[32:33], v[18:19], v[26:27]
	v_fma_f64 v[20:21], v[32:33], v[20:21], -v[28:29]
	buffer_load_dword v26, off, s[68:71], 0 offset:44 ; 4-byte Folded Reload
	buffer_load_dword v27, off, s[68:71], 0 offset:48 ; 4-byte Folded Reload
	;; [unrolled: 1-line block ×4, first 2 shown]
	s_waitcnt vmcnt(0)
	v_mul_f64 v[22:23], v[28:29], v[10:11]
	v_mul_f64 v[24:25], v[28:29], v[8:9]
	global_store_dwordx4 v[12:13], v[0:3], off
	v_add_co_u32_e32 v12, vcc, s6, v12
	v_mul_f64 v[0:1], v[18:19], s[2:3]
	v_mul_f64 v[2:3], v[20:21], s[2:3]
	v_addc_co_u32_e32 v13, vcc, v13, v31, vcc
	v_fma_f64 v[8:9], v[26:27], v[8:9], v[22:23]
	v_fma_f64 v[18:19], v[26:27], v[10:11], -v[24:25]
	buffer_load_dword v24, off, s[68:71], 0 offset:76 ; 4-byte Folded Reload
	buffer_load_dword v25, off, s[68:71], 0 offset:80 ; 4-byte Folded Reload
	;; [unrolled: 1-line block ×4, first 2 shown]
	s_waitcnt vmcnt(0) lgkmcnt(0)
	v_mul_f64 v[20:21], v[26:27], v[6:7]
	v_mul_f64 v[22:23], v[26:27], v[4:5]
	global_store_dwordx4 v[12:13], v[0:3], off
	v_add_co_u32_e32 v12, vcc, s4, v12
	v_mul_f64 v[0:1], v[8:9], s[2:3]
	ds_read_b128 v[8:11], v48 offset:11424
	v_mul_f64 v[2:3], v[18:19], s[2:3]
	v_fma_f64 v[18:19], v[24:25], v[4:5], v[20:21]
	v_fma_f64 v[22:23], v[24:25], v[6:7], -v[22:23]
	ds_read_b128 v[4:7], v48 offset:12512
	buffer_load_dword v32, off, s[68:71], 0 offset:92 ; 4-byte Folded Reload
	buffer_load_dword v33, off, s[68:71], 0 offset:96 ; 4-byte Folded Reload
	;; [unrolled: 1-line block ×4, first 2 shown]
	v_addc_co_u32_e32 v13, vcc, v13, v30, vcc
	global_store_dwordx4 v[12:13], v[0:3], off
	s_nop 0
	v_mul_f64 v[0:1], v[18:19], s[2:3]
	ds_read_b128 v[18:21], v48 offset:4352
	v_mul_f64 v[2:3], v[22:23], s[2:3]
	v_add_co_u32_e32 v12, vcc, s6, v12
	v_addc_co_u32_e32 v13, vcc, v13, v31, vcc
	s_waitcnt vmcnt(1) lgkmcnt(2)
	v_mul_f64 v[24:25], v[34:35], v[10:11]
	v_mul_f64 v[26:27], v[34:35], v[8:9]
	v_fma_f64 v[22:23], v[32:33], v[8:9], v[24:25]
	v_fma_f64 v[24:25], v[32:33], v[10:11], -v[26:27]
	ds_read_b128 v[8:11], v48 offset:5440
	buffer_load_dword v32, off, s[68:71], 0 offset:196 ; 4-byte Folded Reload
	buffer_load_dword v33, off, s[68:71], 0 offset:200 ; 4-byte Folded Reload
	;; [unrolled: 1-line block ×4, first 2 shown]
	s_waitcnt vmcnt(0) lgkmcnt(1)
	v_mul_f64 v[26:27], v[34:35], v[20:21]
	v_mul_f64 v[28:29], v[34:35], v[18:19]
	global_store_dwordx4 v[12:13], v[0:3], off
	v_add_co_u32_e32 v12, vcc, s4, v12
	v_mul_f64 v[0:1], v[22:23], s[2:3]
	v_mul_f64 v[2:3], v[24:25], s[2:3]
	v_addc_co_u32_e32 v13, vcc, v13, v30, vcc
	v_fma_f64 v[18:19], v[32:33], v[18:19], v[26:27]
	v_fma_f64 v[20:21], v[32:33], v[20:21], -v[28:29]
	buffer_load_dword v26, off, s[68:71], 0 offset:132 ; 4-byte Folded Reload
	buffer_load_dword v27, off, s[68:71], 0 offset:136 ; 4-byte Folded Reload
	;; [unrolled: 1-line block ×4, first 2 shown]
	s_waitcnt vmcnt(0)
	v_mul_f64 v[22:23], v[28:29], v[6:7]
	v_mul_f64 v[24:25], v[28:29], v[4:5]
	global_store_dwordx4 v[12:13], v[0:3], off
	v_add_co_u32_e32 v12, vcc, s6, v12
	v_mul_f64 v[0:1], v[18:19], s[2:3]
	v_mul_f64 v[2:3], v[20:21], s[2:3]
	v_addc_co_u32_e32 v13, vcc, v13, v31, vcc
	v_fma_f64 v[4:5], v[26:27], v[4:5], v[22:23]
	v_fma_f64 v[18:19], v[26:27], v[6:7], -v[24:25]
	buffer_load_dword v24, off, s[68:71], 0 offset:164 ; 4-byte Folded Reload
	buffer_load_dword v25, off, s[68:71], 0 offset:168 ; 4-byte Folded Reload
	;; [unrolled: 1-line block ×4, first 2 shown]
	s_waitcnt vmcnt(0) lgkmcnt(0)
	v_mul_f64 v[20:21], v[26:27], v[10:11]
	v_mul_f64 v[22:23], v[26:27], v[8:9]
	global_store_dwordx4 v[12:13], v[0:3], off
	v_add_co_u32_e32 v12, vcc, s4, v12
	v_mul_f64 v[0:1], v[4:5], s[2:3]
	ds_read_b128 v[4:7], v48 offset:13600
	v_mul_f64 v[2:3], v[18:19], s[2:3]
	v_fma_f64 v[18:19], v[24:25], v[8:9], v[20:21]
	v_fma_f64 v[20:21], v[24:25], v[10:11], -v[22:23]
	ds_read_b128 v[8:11], v48 offset:14688
	buffer_load_dword v26, off, s[68:71], 0 offset:148 ; 4-byte Folded Reload
	buffer_load_dword v27, off, s[68:71], 0 offset:152 ; 4-byte Folded Reload
	;; [unrolled: 1-line block ×4, first 2 shown]
	v_addc_co_u32_e32 v13, vcc, v13, v30, vcc
	global_store_dwordx4 v[12:13], v[0:3], off
	s_nop 0
	v_mul_f64 v[0:1], v[18:19], s[2:3]
	v_mul_f64 v[2:3], v[20:21], s[2:3]
	v_add_co_u32_e32 v12, vcc, s6, v12
	v_addc_co_u32_e32 v13, vcc, v13, v31, vcc
	s_waitcnt vmcnt(1) lgkmcnt(1)
	v_mul_f64 v[22:23], v[28:29], v[6:7]
	v_mul_f64 v[24:25], v[28:29], v[4:5]
	v_fma_f64 v[4:5], v[26:27], v[4:5], v[22:23]
	v_fma_f64 v[6:7], v[26:27], v[6:7], -v[24:25]
	buffer_load_dword v26, off, s[68:71], 0 offset:180 ; 4-byte Folded Reload
	buffer_load_dword v27, off, s[68:71], 0 offset:184 ; 4-byte Folded Reload
	buffer_load_dword v28, off, s[68:71], 0 offset:188 ; 4-byte Folded Reload
	buffer_load_dword v29, off, s[68:71], 0 offset:192 ; 4-byte Folded Reload
	buffer_load_dword v32, off, s[68:71], 0 offset:212 ; 4-byte Folded Reload
	buffer_load_dword v33, off, s[68:71], 0 offset:216 ; 4-byte Folded Reload
	buffer_load_dword v34, off, s[68:71], 0 offset:220 ; 4-byte Folded Reload
	buffer_load_dword v35, off, s[68:71], 0 offset:224 ; 4-byte Folded Reload
	s_waitcnt vmcnt(4)
	v_mul_f64 v[18:19], v[28:29], v[16:17]
	v_mul_f64 v[20:21], v[28:29], v[14:15]
	s_waitcnt vmcnt(0) lgkmcnt(0)
	v_mul_f64 v[22:23], v[34:35], v[10:11]
	v_mul_f64 v[24:25], v[34:35], v[8:9]
	global_store_dwordx4 v[12:13], v[0:3], off
	v_add_co_u32_e32 v12, vcc, s4, v12
	v_mul_f64 v[0:1], v[4:5], s[2:3]
	v_mul_f64 v[2:3], v[6:7], s[2:3]
	v_fma_f64 v[4:5], v[26:27], v[14:15], v[18:19]
	v_fma_f64 v[6:7], v[26:27], v[16:17], -v[20:21]
	v_fma_f64 v[8:9], v[32:33], v[8:9], v[22:23]
	v_fma_f64 v[10:11], v[32:33], v[10:11], -v[24:25]
	v_addc_co_u32_e32 v13, vcc, v13, v30, vcc
	global_store_dwordx4 v[12:13], v[0:3], off
	v_mul_f64 v[4:5], v[4:5], s[2:3]
	v_mul_f64 v[6:7], v[6:7], s[2:3]
	;; [unrolled: 1-line block ×4, first 2 shown]
	v_add_co_u32_e32 v0, vcc, s6, v12
	v_addc_co_u32_e32 v1, vcc, v13, v31, vcc
	global_store_dwordx4 v[0:1], v[4:7], off
	v_add_co_u32_e32 v0, vcc, s4, v0
	v_addc_co_u32_e32 v1, vcc, v1, v30, vcc
	global_store_dwordx4 v[0:1], v[8:11], off
	s_and_b64 exec, exec, s[0:1]
	s_cbranch_execz .LBB0_31
; %bb.30:
	buffer_load_dword v16, off, s[68:71], 0 offset:4 ; 4-byte Folded Reload
	buffer_load_dword v17, off, s[68:71], 0 offset:8 ; 4-byte Folded Reload
	s_movk_i32 s0, 0x3000
	s_waitcnt vmcnt(1)
	v_add_co_u32_e32 v2, vcc, 0x1000, v16
	s_waitcnt vmcnt(0)
	v_addc_co_u32_e32 v3, vcc, 0, v17, vcc
	global_load_dwordx4 v[2:5], v[2:3], off offset:3520
	ds_read_b128 v[6:9], v48 offset:7616
	ds_read_b128 v[10:13], v48 offset:15776
	s_waitcnt vmcnt(0) lgkmcnt(1)
	v_mul_f64 v[14:15], v[8:9], v[4:5]
	v_mul_f64 v[4:5], v[6:7], v[4:5]
	v_fma_f64 v[6:7], v[6:7], v[2:3], v[14:15]
	v_fma_f64 v[4:5], v[2:3], v[8:9], -v[4:5]
	v_mov_b32_e32 v8, s7
	v_mul_f64 v[2:3], v[6:7], s[2:3]
	v_mul_f64 v[4:5], v[4:5], s[2:3]
	v_add_co_u32_e32 v6, vcc, s6, v0
	v_addc_co_u32_e32 v7, vcc, v1, v8, vcc
	v_add_co_u32_e32 v0, vcc, s0, v16
	v_addc_co_u32_e32 v1, vcc, 0, v17, vcc
	global_store_dwordx4 v[6:7], v[2:5], off
	global_load_dwordx4 v[0:3], v[0:1], off offset:3488
	s_waitcnt vmcnt(0) lgkmcnt(0)
	v_mul_f64 v[4:5], v[12:13], v[2:3]
	v_mul_f64 v[2:3], v[10:11], v[2:3]
	v_fma_f64 v[4:5], v[10:11], v[0:1], v[4:5]
	v_fma_f64 v[2:3], v[0:1], v[12:13], -v[2:3]
	v_mul_f64 v[0:1], v[4:5], s[2:3]
	v_mul_f64 v[2:3], v[2:3], s[2:3]
	v_mov_b32_e32 v5, s5
	v_add_co_u32_e32 v4, vcc, s4, v6
	v_addc_co_u32_e32 v5, vcc, v7, v5, vcc
	global_store_dwordx4 v[4:5], v[0:3], off
.LBB0_31:
	s_endpgm
	.section	.rodata,"a",@progbits
	.p2align	6, 0x0
	.amdhsa_kernel bluestein_single_back_len1020_dim1_dp_op_CI_CI
		.amdhsa_group_segment_fixed_size 48960
		.amdhsa_private_segment_fixed_size 888
		.amdhsa_kernarg_size 104
		.amdhsa_user_sgpr_count 6
		.amdhsa_user_sgpr_private_segment_buffer 1
		.amdhsa_user_sgpr_dispatch_ptr 0
		.amdhsa_user_sgpr_queue_ptr 0
		.amdhsa_user_sgpr_kernarg_segment_ptr 1
		.amdhsa_user_sgpr_dispatch_id 0
		.amdhsa_user_sgpr_flat_scratch_init 0
		.amdhsa_user_sgpr_private_segment_size 0
		.amdhsa_uses_dynamic_stack 0
		.amdhsa_system_sgpr_private_segment_wavefront_offset 1
		.amdhsa_system_sgpr_workgroup_id_x 1
		.amdhsa_system_sgpr_workgroup_id_y 0
		.amdhsa_system_sgpr_workgroup_id_z 0
		.amdhsa_system_sgpr_workgroup_info 0
		.amdhsa_system_vgpr_workitem_id 0
		.amdhsa_next_free_vgpr 256
		.amdhsa_next_free_sgpr 72
		.amdhsa_reserve_vcc 1
		.amdhsa_reserve_flat_scratch 0
		.amdhsa_float_round_mode_32 0
		.amdhsa_float_round_mode_16_64 0
		.amdhsa_float_denorm_mode_32 3
		.amdhsa_float_denorm_mode_16_64 3
		.amdhsa_dx10_clamp 1
		.amdhsa_ieee_mode 1
		.amdhsa_fp16_overflow 0
		.amdhsa_exception_fp_ieee_invalid_op 0
		.amdhsa_exception_fp_denorm_src 0
		.amdhsa_exception_fp_ieee_div_zero 0
		.amdhsa_exception_fp_ieee_overflow 0
		.amdhsa_exception_fp_ieee_underflow 0
		.amdhsa_exception_fp_ieee_inexact 0
		.amdhsa_exception_int_div_zero 0
	.end_amdhsa_kernel
	.text
.Lfunc_end0:
	.size	bluestein_single_back_len1020_dim1_dp_op_CI_CI, .Lfunc_end0-bluestein_single_back_len1020_dim1_dp_op_CI_CI
                                        ; -- End function
	.section	.AMDGPU.csdata,"",@progbits
; Kernel info:
; codeLenInByte = 35424
; NumSgprs: 76
; NumVgprs: 256
; ScratchSize: 888
; MemoryBound: 0
; FloatMode: 240
; IeeeMode: 1
; LDSByteSize: 48960 bytes/workgroup (compile time only)
; SGPRBlocks: 9
; VGPRBlocks: 63
; NumSGPRsForWavesPerEU: 76
; NumVGPRsForWavesPerEU: 256
; Occupancy: 1
; WaveLimiterHint : 1
; COMPUTE_PGM_RSRC2:SCRATCH_EN: 1
; COMPUTE_PGM_RSRC2:USER_SGPR: 6
; COMPUTE_PGM_RSRC2:TRAP_HANDLER: 0
; COMPUTE_PGM_RSRC2:TGID_X_EN: 1
; COMPUTE_PGM_RSRC2:TGID_Y_EN: 0
; COMPUTE_PGM_RSRC2:TGID_Z_EN: 0
; COMPUTE_PGM_RSRC2:TIDIG_COMP_CNT: 0
	.type	__hip_cuid_fc797f58d717c4d5,@object ; @__hip_cuid_fc797f58d717c4d5
	.section	.bss,"aw",@nobits
	.globl	__hip_cuid_fc797f58d717c4d5
__hip_cuid_fc797f58d717c4d5:
	.byte	0                               ; 0x0
	.size	__hip_cuid_fc797f58d717c4d5, 1

	.ident	"AMD clang version 19.0.0git (https://github.com/RadeonOpenCompute/llvm-project roc-6.4.0 25133 c7fe45cf4b819c5991fe208aaa96edf142730f1d)"
	.section	".note.GNU-stack","",@progbits
	.addrsig
	.addrsig_sym __hip_cuid_fc797f58d717c4d5
	.amdgpu_metadata
---
amdhsa.kernels:
  - .args:
      - .actual_access:  read_only
        .address_space:  global
        .offset:         0
        .size:           8
        .value_kind:     global_buffer
      - .actual_access:  read_only
        .address_space:  global
        .offset:         8
        .size:           8
        .value_kind:     global_buffer
      - .actual_access:  read_only
        .address_space:  global
        .offset:         16
        .size:           8
        .value_kind:     global_buffer
      - .actual_access:  read_only
        .address_space:  global
        .offset:         24
        .size:           8
        .value_kind:     global_buffer
      - .actual_access:  read_only
        .address_space:  global
        .offset:         32
        .size:           8
        .value_kind:     global_buffer
      - .offset:         40
        .size:           8
        .value_kind:     by_value
      - .address_space:  global
        .offset:         48
        .size:           8
        .value_kind:     global_buffer
      - .address_space:  global
        .offset:         56
        .size:           8
        .value_kind:     global_buffer
      - .address_space:  global
        .offset:         64
        .size:           8
        .value_kind:     global_buffer
      - .address_space:  global
        .offset:         72
        .size:           8
        .value_kind:     global_buffer
      - .offset:         80
        .size:           4
        .value_kind:     by_value
      - .address_space:  global
        .offset:         88
        .size:           8
        .value_kind:     global_buffer
      - .address_space:  global
        .offset:         96
        .size:           8
        .value_kind:     global_buffer
    .group_segment_fixed_size: 48960
    .kernarg_segment_align: 8
    .kernarg_segment_size: 104
    .language:       OpenCL C
    .language_version:
      - 2
      - 0
    .max_flat_workgroup_size: 204
    .name:           bluestein_single_back_len1020_dim1_dp_op_CI_CI
    .private_segment_fixed_size: 888
    .sgpr_count:     76
    .sgpr_spill_count: 0
    .symbol:         bluestein_single_back_len1020_dim1_dp_op_CI_CI.kd
    .uniform_work_group_size: 1
    .uses_dynamic_stack: false
    .vgpr_count:     256
    .vgpr_spill_count: 336
    .wavefront_size: 64
amdhsa.target:   amdgcn-amd-amdhsa--gfx906
amdhsa.version:
  - 1
  - 2
...

	.end_amdgpu_metadata
